;; amdgpu-corpus repo=ROCm/rocFFT kind=compiled arch=gfx1100 opt=O3
	.text
	.amdgcn_target "amdgcn-amd-amdhsa--gfx1100"
	.amdhsa_code_object_version 6
	.protected	fft_rtc_fwd_len850_factors_10_5_17_wgs_85_tpt_85_half_op_CI_CI_sbrr_dirReg ; -- Begin function fft_rtc_fwd_len850_factors_10_5_17_wgs_85_tpt_85_half_op_CI_CI_sbrr_dirReg
	.globl	fft_rtc_fwd_len850_factors_10_5_17_wgs_85_tpt_85_half_op_CI_CI_sbrr_dirReg
	.p2align	8
	.type	fft_rtc_fwd_len850_factors_10_5_17_wgs_85_tpt_85_half_op_CI_CI_sbrr_dirReg,@function
fft_rtc_fwd_len850_factors_10_5_17_wgs_85_tpt_85_half_op_CI_CI_sbrr_dirReg: ; @fft_rtc_fwd_len850_factors_10_5_17_wgs_85_tpt_85_half_op_CI_CI_sbrr_dirReg
; %bb.0:
	s_clause 0x2
	s_load_b128 s[16:19], s[0:1], 0x18
	s_load_b128 s[8:11], s[0:1], 0x0
	;; [unrolled: 1-line block ×3, first 2 shown]
	v_mul_u32_u24_e32 v1, 0x304, v0
	v_mov_b32_e32 v5, 0
	v_mov_b32_e32 v3, 0
	;; [unrolled: 1-line block ×3, first 2 shown]
	s_waitcnt lgkmcnt(0)
	s_load_b64 s[20:21], s[16:17], 0x0
	s_load_b64 s[12:13], s[18:19], 0x0
	v_lshrrev_b32_e32 v1, 16, v1
	v_cmp_lt_u64_e64 s2, s[10:11], 2
	s_delay_alu instid0(VALU_DEP_2) | instskip(NEXT) | instid1(VALU_DEP_2)
	v_dual_mov_b32 v10, v5 :: v_dual_add_nc_u32 v9, s15, v1
	s_and_b32 vcc_lo, exec_lo, s2
	s_cbranch_vccnz .LBB0_8
; %bb.1:
	s_load_b64 s[2:3], s[0:1], 0x10
	v_mov_b32_e32 v3, 0
	v_mov_b32_e32 v4, 0
	s_add_u32 s14, s18, 8
	s_addc_u32 s15, s19, 0
	s_add_u32 s22, s16, 8
	s_delay_alu instid0(VALU_DEP_1)
	v_dual_mov_b32 v1, v3 :: v_dual_mov_b32 v2, v4
	s_addc_u32 s23, s17, 0
	s_mov_b64 s[26:27], 1
	s_waitcnt lgkmcnt(0)
	s_add_u32 s24, s2, 8
	s_addc_u32 s25, s3, 0
.LBB0_2:                                ; =>This Inner Loop Header: Depth=1
	s_load_b64 s[28:29], s[24:25], 0x0
                                        ; implicit-def: $vgpr7_vgpr8
	s_mov_b32 s2, exec_lo
	s_waitcnt lgkmcnt(0)
	v_or_b32_e32 v6, s29, v10
	s_delay_alu instid0(VALU_DEP_1)
	v_cmpx_ne_u64_e32 0, v[5:6]
	s_xor_b32 s3, exec_lo, s2
	s_cbranch_execz .LBB0_4
; %bb.3:                                ;   in Loop: Header=BB0_2 Depth=1
	v_cvt_f32_u32_e32 v6, s28
	v_cvt_f32_u32_e32 v7, s29
	s_sub_u32 s2, 0, s28
	s_subb_u32 s30, 0, s29
	s_delay_alu instid0(VALU_DEP_1) | instskip(NEXT) | instid1(VALU_DEP_1)
	v_fmac_f32_e32 v6, 0x4f800000, v7
	v_rcp_f32_e32 v6, v6
	s_waitcnt_depctr 0xfff
	v_mul_f32_e32 v6, 0x5f7ffffc, v6
	s_delay_alu instid0(VALU_DEP_1) | instskip(NEXT) | instid1(VALU_DEP_1)
	v_mul_f32_e32 v7, 0x2f800000, v6
	v_trunc_f32_e32 v7, v7
	s_delay_alu instid0(VALU_DEP_1) | instskip(SKIP_1) | instid1(VALU_DEP_2)
	v_fmac_f32_e32 v6, 0xcf800000, v7
	v_cvt_u32_f32_e32 v7, v7
	v_cvt_u32_f32_e32 v6, v6
	s_delay_alu instid0(VALU_DEP_2) | instskip(NEXT) | instid1(VALU_DEP_2)
	v_mul_lo_u32 v8, s2, v7
	v_mul_hi_u32 v11, s2, v6
	v_mul_lo_u32 v12, s30, v6
	s_delay_alu instid0(VALU_DEP_2) | instskip(SKIP_1) | instid1(VALU_DEP_2)
	v_add_nc_u32_e32 v8, v11, v8
	v_mul_lo_u32 v11, s2, v6
	v_add_nc_u32_e32 v8, v8, v12
	s_delay_alu instid0(VALU_DEP_2) | instskip(NEXT) | instid1(VALU_DEP_2)
	v_mul_hi_u32 v12, v6, v11
	v_mul_lo_u32 v13, v6, v8
	v_mul_hi_u32 v14, v6, v8
	v_mul_hi_u32 v15, v7, v11
	v_mul_lo_u32 v11, v7, v11
	v_mul_hi_u32 v16, v7, v8
	v_mul_lo_u32 v8, v7, v8
	v_add_co_u32 v12, vcc_lo, v12, v13
	v_add_co_ci_u32_e32 v13, vcc_lo, 0, v14, vcc_lo
	s_delay_alu instid0(VALU_DEP_2) | instskip(NEXT) | instid1(VALU_DEP_2)
	v_add_co_u32 v11, vcc_lo, v12, v11
	v_add_co_ci_u32_e32 v11, vcc_lo, v13, v15, vcc_lo
	v_add_co_ci_u32_e32 v12, vcc_lo, 0, v16, vcc_lo
	s_delay_alu instid0(VALU_DEP_2) | instskip(NEXT) | instid1(VALU_DEP_2)
	v_add_co_u32 v8, vcc_lo, v11, v8
	v_add_co_ci_u32_e32 v11, vcc_lo, 0, v12, vcc_lo
	s_delay_alu instid0(VALU_DEP_2) | instskip(NEXT) | instid1(VALU_DEP_2)
	v_add_co_u32 v6, vcc_lo, v6, v8
	v_add_co_ci_u32_e32 v7, vcc_lo, v7, v11, vcc_lo
	s_delay_alu instid0(VALU_DEP_2) | instskip(SKIP_1) | instid1(VALU_DEP_3)
	v_mul_hi_u32 v8, s2, v6
	v_mul_lo_u32 v12, s30, v6
	v_mul_lo_u32 v11, s2, v7
	s_delay_alu instid0(VALU_DEP_1) | instskip(SKIP_1) | instid1(VALU_DEP_2)
	v_add_nc_u32_e32 v8, v8, v11
	v_mul_lo_u32 v11, s2, v6
	v_add_nc_u32_e32 v8, v8, v12
	s_delay_alu instid0(VALU_DEP_2) | instskip(NEXT) | instid1(VALU_DEP_2)
	v_mul_hi_u32 v12, v6, v11
	v_mul_lo_u32 v13, v6, v8
	v_mul_hi_u32 v14, v6, v8
	v_mul_hi_u32 v15, v7, v11
	v_mul_lo_u32 v11, v7, v11
	v_mul_hi_u32 v16, v7, v8
	v_mul_lo_u32 v8, v7, v8
	v_add_co_u32 v12, vcc_lo, v12, v13
	v_add_co_ci_u32_e32 v13, vcc_lo, 0, v14, vcc_lo
	s_delay_alu instid0(VALU_DEP_2) | instskip(NEXT) | instid1(VALU_DEP_2)
	v_add_co_u32 v11, vcc_lo, v12, v11
	v_add_co_ci_u32_e32 v11, vcc_lo, v13, v15, vcc_lo
	v_add_co_ci_u32_e32 v12, vcc_lo, 0, v16, vcc_lo
	s_delay_alu instid0(VALU_DEP_2) | instskip(NEXT) | instid1(VALU_DEP_2)
	v_add_co_u32 v8, vcc_lo, v11, v8
	v_add_co_ci_u32_e32 v11, vcc_lo, 0, v12, vcc_lo
	s_delay_alu instid0(VALU_DEP_2) | instskip(NEXT) | instid1(VALU_DEP_2)
	v_add_co_u32 v8, vcc_lo, v6, v8
	v_add_co_ci_u32_e32 v15, vcc_lo, v7, v11, vcc_lo
	s_delay_alu instid0(VALU_DEP_2) | instskip(SKIP_1) | instid1(VALU_DEP_3)
	v_mul_hi_u32 v16, v9, v8
	v_mad_u64_u32 v[11:12], null, v10, v8, 0
	v_mad_u64_u32 v[6:7], null, v9, v15, 0
	;; [unrolled: 1-line block ×3, first 2 shown]
	s_delay_alu instid0(VALU_DEP_2) | instskip(NEXT) | instid1(VALU_DEP_3)
	v_add_co_u32 v6, vcc_lo, v16, v6
	v_add_co_ci_u32_e32 v7, vcc_lo, 0, v7, vcc_lo
	s_delay_alu instid0(VALU_DEP_2) | instskip(NEXT) | instid1(VALU_DEP_2)
	v_add_co_u32 v6, vcc_lo, v6, v11
	v_add_co_ci_u32_e32 v6, vcc_lo, v7, v12, vcc_lo
	v_add_co_ci_u32_e32 v7, vcc_lo, 0, v14, vcc_lo
	s_delay_alu instid0(VALU_DEP_2) | instskip(NEXT) | instid1(VALU_DEP_2)
	v_add_co_u32 v11, vcc_lo, v6, v13
	v_add_co_ci_u32_e32 v8, vcc_lo, 0, v7, vcc_lo
	s_delay_alu instid0(VALU_DEP_2) | instskip(SKIP_1) | instid1(VALU_DEP_3)
	v_mul_lo_u32 v12, s29, v11
	v_mad_u64_u32 v[6:7], null, s28, v11, 0
	v_mul_lo_u32 v13, s28, v8
	s_delay_alu instid0(VALU_DEP_2) | instskip(NEXT) | instid1(VALU_DEP_2)
	v_sub_co_u32 v6, vcc_lo, v9, v6
	v_add3_u32 v7, v7, v13, v12
	s_delay_alu instid0(VALU_DEP_1) | instskip(NEXT) | instid1(VALU_DEP_1)
	v_sub_nc_u32_e32 v12, v10, v7
	v_subrev_co_ci_u32_e64 v12, s2, s29, v12, vcc_lo
	v_add_co_u32 v13, s2, v11, 2
	s_delay_alu instid0(VALU_DEP_1) | instskip(SKIP_3) | instid1(VALU_DEP_3)
	v_add_co_ci_u32_e64 v14, s2, 0, v8, s2
	v_sub_co_u32 v15, s2, v6, s28
	v_sub_co_ci_u32_e32 v7, vcc_lo, v10, v7, vcc_lo
	v_subrev_co_ci_u32_e64 v12, s2, 0, v12, s2
	v_cmp_le_u32_e32 vcc_lo, s28, v15
	s_delay_alu instid0(VALU_DEP_3) | instskip(SKIP_1) | instid1(VALU_DEP_4)
	v_cmp_eq_u32_e64 s2, s29, v7
	v_cndmask_b32_e64 v15, 0, -1, vcc_lo
	v_cmp_le_u32_e32 vcc_lo, s29, v12
	v_cndmask_b32_e64 v16, 0, -1, vcc_lo
	v_cmp_le_u32_e32 vcc_lo, s28, v6
	;; [unrolled: 2-line block ×3, first 2 shown]
	v_cndmask_b32_e64 v17, 0, -1, vcc_lo
	v_cmp_eq_u32_e32 vcc_lo, s29, v12
	s_delay_alu instid0(VALU_DEP_2) | instskip(SKIP_3) | instid1(VALU_DEP_3)
	v_cndmask_b32_e64 v6, v17, v6, s2
	v_cndmask_b32_e32 v12, v16, v15, vcc_lo
	v_add_co_u32 v15, vcc_lo, v11, 1
	v_add_co_ci_u32_e32 v16, vcc_lo, 0, v8, vcc_lo
	v_cmp_ne_u32_e32 vcc_lo, 0, v12
	s_delay_alu instid0(VALU_DEP_2) | instskip(SKIP_1) | instid1(VALU_DEP_2)
	v_dual_cndmask_b32 v7, v16, v14 :: v_dual_cndmask_b32 v12, v15, v13
	v_cmp_ne_u32_e32 vcc_lo, 0, v6
	v_dual_cndmask_b32 v8, v8, v7 :: v_dual_cndmask_b32 v7, v11, v12
.LBB0_4:                                ;   in Loop: Header=BB0_2 Depth=1
	s_and_not1_saveexec_b32 s2, s3
	s_cbranch_execz .LBB0_6
; %bb.5:                                ;   in Loop: Header=BB0_2 Depth=1
	v_cvt_f32_u32_e32 v6, s28
	s_sub_i32 s3, 0, s28
	s_delay_alu instid0(VALU_DEP_1) | instskip(SKIP_2) | instid1(VALU_DEP_1)
	v_rcp_iflag_f32_e32 v6, v6
	s_waitcnt_depctr 0xfff
	v_mul_f32_e32 v6, 0x4f7ffffe, v6
	v_cvt_u32_f32_e32 v6, v6
	s_delay_alu instid0(VALU_DEP_1) | instskip(NEXT) | instid1(VALU_DEP_1)
	v_mul_lo_u32 v7, s3, v6
	v_mul_hi_u32 v7, v6, v7
	s_delay_alu instid0(VALU_DEP_1) | instskip(NEXT) | instid1(VALU_DEP_1)
	v_add_nc_u32_e32 v6, v6, v7
	v_mul_hi_u32 v6, v9, v6
	s_delay_alu instid0(VALU_DEP_1) | instskip(SKIP_1) | instid1(VALU_DEP_2)
	v_mul_lo_u32 v7, v6, s28
	v_add_nc_u32_e32 v8, 1, v6
	v_sub_nc_u32_e32 v7, v9, v7
	s_delay_alu instid0(VALU_DEP_1) | instskip(SKIP_1) | instid1(VALU_DEP_2)
	v_subrev_nc_u32_e32 v11, s28, v7
	v_cmp_le_u32_e32 vcc_lo, s28, v7
	v_dual_cndmask_b32 v7, v7, v11 :: v_dual_cndmask_b32 v6, v6, v8
	s_delay_alu instid0(VALU_DEP_1) | instskip(NEXT) | instid1(VALU_DEP_2)
	v_cmp_le_u32_e32 vcc_lo, s28, v7
	v_add_nc_u32_e32 v8, 1, v6
	s_delay_alu instid0(VALU_DEP_1)
	v_dual_cndmask_b32 v7, v6, v8 :: v_dual_mov_b32 v8, v5
.LBB0_6:                                ;   in Loop: Header=BB0_2 Depth=1
	s_or_b32 exec_lo, exec_lo, s2
	s_delay_alu instid0(VALU_DEP_1) | instskip(NEXT) | instid1(VALU_DEP_2)
	v_mul_lo_u32 v6, v8, s28
	v_mul_lo_u32 v13, v7, s29
	s_load_b64 s[2:3], s[22:23], 0x0
	v_mad_u64_u32 v[11:12], null, v7, s28, 0
	s_load_b64 s[28:29], s[14:15], 0x0
	s_add_u32 s26, s26, 1
	s_addc_u32 s27, s27, 0
	s_add_u32 s14, s14, 8
	s_addc_u32 s15, s15, 0
	s_add_u32 s22, s22, 8
	s_delay_alu instid0(VALU_DEP_1) | instskip(SKIP_3) | instid1(VALU_DEP_2)
	v_add3_u32 v6, v12, v13, v6
	v_sub_co_u32 v13, vcc_lo, v9, v11
	s_addc_u32 s23, s23, 0
	s_add_u32 s24, s24, 8
	v_sub_co_ci_u32_e32 v6, vcc_lo, v10, v6, vcc_lo
	s_addc_u32 s25, s25, 0
	s_waitcnt lgkmcnt(0)
	s_delay_alu instid0(VALU_DEP_1)
	v_mul_lo_u32 v14, s2, v6
	v_mul_lo_u32 v15, s3, v13
	v_mad_u64_u32 v[9:10], null, s2, v13, v[3:4]
	v_mul_lo_u32 v6, s28, v6
	v_mul_lo_u32 v16, s29, v13
	v_mad_u64_u32 v[11:12], null, s28, v13, v[1:2]
	v_cmp_ge_u64_e64 s2, s[26:27], s[10:11]
	v_add3_u32 v4, v15, v10, v14
	v_mov_b32_e32 v3, v9
	s_delay_alu instid0(VALU_DEP_4)
	v_add3_u32 v2, v16, v12, v6
	v_mov_b32_e32 v1, v11
	s_and_b32 vcc_lo, exec_lo, s2
	s_cbranch_vccnz .LBB0_9
; %bb.7:                                ;   in Loop: Header=BB0_2 Depth=1
	v_dual_mov_b32 v10, v8 :: v_dual_mov_b32 v9, v7
	s_branch .LBB0_2
.LBB0_8:
	v_dual_mov_b32 v1, v3 :: v_dual_mov_b32 v2, v4
	s_delay_alu instid0(VALU_DEP_2)
	v_dual_mov_b32 v7, v9 :: v_dual_mov_b32 v8, v10
.LBB0_9:
	s_load_b64 s[0:1], s[0:1], 0x28
	v_mul_hi_u32 v18, 0x3030304, v0
	s_lshl_b64 s[10:11], s[10:11], 3
                                        ; implicit-def: $vgpr24
                                        ; implicit-def: $vgpr5
	s_delay_alu instid0(SALU_CYCLE_1) | instskip(SKIP_4) | instid1(VALU_DEP_1)
	s_add_u32 s2, s18, s10
	s_addc_u32 s3, s19, s11
	s_waitcnt lgkmcnt(0)
	v_cmp_gt_u64_e32 vcc_lo, s[0:1], v[7:8]
	v_cmp_le_u64_e64 s0, s[0:1], v[7:8]
	s_and_saveexec_b32 s1, s0
	s_delay_alu instid0(SALU_CYCLE_1)
	s_xor_b32 s0, exec_lo, s1
; %bb.10:
	v_mul_u32_u24_e32 v3, 0x55, v18
                                        ; implicit-def: $vgpr18
	s_delay_alu instid0(VALU_DEP_1) | instskip(NEXT) | instid1(VALU_DEP_1)
	v_sub_nc_u32_e32 v24, v0, v3
                                        ; implicit-def: $vgpr0
                                        ; implicit-def: $vgpr3_vgpr4
	v_add_nc_u32_e32 v5, 0x55, v24
; %bb.11:
	s_or_saveexec_b32 s1, s0
                                        ; implicit-def: $vgpr17
                                        ; implicit-def: $vgpr16
                                        ; implicit-def: $vgpr11
                                        ; implicit-def: $vgpr10
                                        ; implicit-def: $vgpr6
                                        ; implicit-def: $vgpr15
                                        ; implicit-def: $vgpr14
                                        ; implicit-def: $vgpr13
                                        ; implicit-def: $vgpr12
                                        ; implicit-def: $vgpr9
	s_delay_alu instid0(SALU_CYCLE_1)
	s_xor_b32 exec_lo, exec_lo, s1
	s_cbranch_execz .LBB0_13
; %bb.12:
	s_add_u32 s10, s16, s10
	s_addc_u32 s11, s17, s11
	v_mul_u32_u24_e32 v5, 0x55, v18
	s_load_b64 s[10:11], s[10:11], 0x0
	v_lshlrev_b64 v[3:4], 2, v[3:4]
	s_delay_alu instid0(VALU_DEP_2) | instskip(NEXT) | instid1(VALU_DEP_1)
	v_sub_nc_u32_e32 v24, v0, v5
	v_mad_u64_u32 v[9:10], null, s20, v24, 0
	v_add_nc_u32_e32 v5, 0x55, v24
	v_add_nc_u32_e32 v30, 0x253, v24
	;; [unrolled: 1-line block ×4, first 2 shown]
	v_dual_mov_b32 v0, v10 :: v_dual_add_nc_u32 v29, 0x1fe, v24
	v_mad_u64_u32 v[11:12], null, s20, v5, 0
	v_add_nc_u32_e32 v23, 0xaa, v24
	s_waitcnt lgkmcnt(0)
	v_mul_lo_u32 v10, s11, v7
	v_mul_lo_u32 v20, s10, v8
	v_mad_u64_u32 v[15:16], null, s10, v7, 0
	v_mad_u64_u32 v[17:18], null, s21, v24, v[0:1]
	v_mov_b32_e32 v0, v12
	v_mad_u64_u32 v[13:14], null, s20, v23, 0
	v_add_nc_u32_e32 v25, 0xff, v24
	v_add3_u32 v16, v16, v20, v10
	s_delay_alu instid0(VALU_DEP_4)
	v_mad_u64_u32 v[20:21], null, s21, v5, v[0:1]
	v_mov_b32_e32 v10, v17
	v_mov_b32_e32 v6, v14
	v_mad_u64_u32 v[18:19], null, s20, v25, 0
	v_lshlrev_b64 v[14:15], 2, v[15:16]
	v_mov_b32_e32 v12, v20
	s_delay_alu instid0(VALU_DEP_4)
	v_mad_u64_u32 v[16:17], null, s21, v23, v[6:7]
	v_add_nc_u32_e32 v23, 0x1a9, v24
	v_lshlrev_b64 v[9:10], 2, v[9:10]
	v_add_co_u32 v6, s0, s4, v14
	v_mov_b32_e32 v0, v19
	v_add_co_ci_u32_e64 v15, s0, s5, v15, s0
	s_delay_alu instid0(VALU_DEP_3) | instskip(SKIP_1) | instid1(VALU_DEP_3)
	v_add_co_u32 v6, s0, v6, v3
	v_mov_b32_e32 v14, v16
	v_add_co_ci_u32_e64 v33, s0, v15, v4, s0
	v_lshlrev_b64 v[3:4], 2, v[11:12]
	v_mad_u64_u32 v[11:12], null, s21, v25, v[0:1]
	v_add_nc_u32_e32 v26, 0x154, v24
	v_lshlrev_b64 v[12:13], 2, v[13:14]
	v_add_co_u32 v9, s0, v6, v9
	s_delay_alu instid0(VALU_DEP_1) | instskip(SKIP_3) | instid1(VALU_DEP_1)
	v_add_co_ci_u32_e64 v10, s0, v33, v10, s0
	v_mov_b32_e32 v19, v11
	v_mad_u64_u32 v[21:22], null, s20, v26, 0
	v_add_co_u32 v3, s0, v6, v3
	v_add_co_ci_u32_e64 v4, s0, v33, v4, s0
	v_add_co_u32 v11, s0, v6, v12
	s_delay_alu instid0(VALU_DEP_4) | instskip(SKIP_2) | instid1(VALU_DEP_3)
	v_mov_b32_e32 v0, v22
	v_add_co_ci_u32_e64 v12, s0, v33, v13, s0
	v_lshlrev_b64 v[17:18], 2, v[18:19]
	v_mad_u64_u32 v[14:15], null, s21, v26, v[0:1]
	v_mad_u64_u32 v[15:16], null, s20, v23, 0
	v_mad_u64_u32 v[25:26], null, s20, v30, 0
	s_delay_alu instid0(VALU_DEP_4) | instskip(NEXT) | instid1(VALU_DEP_4)
	v_add_co_u32 v27, s0, v6, v17
	v_mov_b32_e32 v22, v14
	v_mad_u64_u32 v[13:14], null, s20, v29, 0
	v_mov_b32_e32 v0, v16
	v_add_co_ci_u32_e64 v28, s0, v33, v18, s0
	s_delay_alu instid0(VALU_DEP_4) | instskip(NEXT) | instid1(VALU_DEP_3)
	v_lshlrev_b64 v[17:18], 2, v[21:22]
	v_mad_u64_u32 v[19:20], null, s21, v23, v[0:1]
	v_mov_b32_e32 v0, v14
	s_delay_alu instid0(VALU_DEP_3) | instskip(NEXT) | instid1(VALU_DEP_1)
	v_add_co_u32 v31, s0, v6, v17
	v_add_co_ci_u32_e64 v32, s0, v33, v18, s0
	s_delay_alu instid0(VALU_DEP_4) | instskip(NEXT) | instid1(VALU_DEP_4)
	v_mov_b32_e32 v16, v19
	v_mad_u64_u32 v[19:20], null, s21, v29, v[0:1]
	v_mov_b32_e32 v0, v26
	v_mad_u64_u32 v[20:21], null, s20, v34, 0
	s_delay_alu instid0(VALU_DEP_4) | instskip(NEXT) | instid1(VALU_DEP_3)
	v_lshlrev_b64 v[15:16], 2, v[15:16]
	v_mad_u64_u32 v[22:23], null, s21, v30, v[0:1]
	v_mad_u64_u32 v[29:30], null, s20, v35, 0
	s_delay_alu instid0(VALU_DEP_4) | instskip(SKIP_1) | instid1(VALU_DEP_4)
	v_mov_b32_e32 v0, v21
	v_mov_b32_e32 v14, v19
	;; [unrolled: 1-line block ×3, first 2 shown]
	s_delay_alu instid0(VALU_DEP_3) | instskip(SKIP_2) | instid1(VALU_DEP_1)
	v_mad_u64_u32 v[17:18], null, s21, v34, v[0:1]
	v_mov_b32_e32 v0, v30
	v_add_co_u32 v18, s0, v6, v15
	v_add_co_ci_u32_e64 v19, s0, v33, v16, s0
	s_delay_alu instid0(VALU_DEP_3) | instskip(SKIP_3) | instid1(VALU_DEP_3)
	v_mad_u64_u32 v[15:16], null, s21, v35, v[0:1]
	v_lshlrev_b64 v[13:14], 2, v[13:14]
	v_mov_b32_e32 v21, v17
	v_lshlrev_b64 v[22:23], 2, v[25:26]
	v_add_co_u32 v25, s0, v6, v13
	v_mov_b32_e32 v30, v15
	v_add_co_ci_u32_e64 v26, s0, v33, v14, s0
	v_lshlrev_b64 v[13:14], 2, v[20:21]
	v_add_co_u32 v20, s0, v6, v22
	s_delay_alu instid0(VALU_DEP_4) | instskip(SKIP_1) | instid1(VALU_DEP_4)
	v_lshlrev_b64 v[15:16], 2, v[29:30]
	v_add_co_ci_u32_e64 v21, s0, v33, v23, s0
	v_add_co_u32 v22, s0, v6, v13
	s_delay_alu instid0(VALU_DEP_1) | instskip(NEXT) | instid1(VALU_DEP_4)
	v_add_co_ci_u32_e64 v23, s0, v33, v14, s0
	v_add_co_u32 v29, s0, v6, v15
	s_delay_alu instid0(VALU_DEP_1)
	v_add_co_ci_u32_e64 v30, s0, v33, v16, s0
	s_clause 0x9
	global_load_b32 v17, v[9:10], off
	global_load_b32 v15, v[3:4], off
	;; [unrolled: 1-line block ×10, first 2 shown]
.LBB0_13:
	s_or_b32 exec_lo, exec_lo, s1
	s_waitcnt vmcnt(3)
	v_add_f16_e32 v0, v11, v10
	v_lshrrev_b32_e32 v3, 16, v16
	s_waitcnt vmcnt(1)
	v_lshrrev_b32_e32 v4, 16, v6
	v_lshrrev_b32_e32 v18, 16, v11
	;; [unrolled: 1-line block ×3, first 2 shown]
	v_fma_f16 v0, -0.5, v0, v17
	v_sub_f16_e32 v21, v6, v10
	v_sub_f16_e32 v20, v3, v4
	;; [unrolled: 1-line block ×3, first 2 shown]
	v_add_f16_e32 v26, v16, v6
	v_sub_f16_e32 v23, v18, v19
	v_pk_add_f16 v27, v17, v16
	v_fmamk_f16 v25, v20, 0x3b9c, v0
	v_add_f16_e32 v21, v22, v21
	v_fmac_f16_e32 v0, 0xbb9c, v20
	v_fma_f16 v22, -0.5, v26, v17
	v_lshrrev_b32_e32 v17, 16, v17
	v_add_f16_e32 v26, v18, v19
	v_fmac_f16_e32 v25, 0x38b4, v23
	v_fmac_f16_e32 v0, 0xb8b4, v23
	v_sub_f16_e32 v29, v10, v6
	v_sub_f16_e32 v30, v11, v16
	v_fma_f16 v26, -0.5, v26, v17
	v_sub_f16_e32 v16, v16, v6
	v_fmac_f16_e32 v25, 0x34f2, v21
	v_fmamk_f16 v28, v23, 0xbb9c, v22
	v_fmac_f16_e32 v0, 0x34f2, v21
	v_add_f16_e32 v21, v30, v29
	v_fmac_f16_e32 v22, 0x3b9c, v23
	v_fmamk_f16 v23, v16, 0xbb9c, v26
	v_sub_f16_e32 v29, v11, v10
	v_sub_f16_e32 v30, v3, v18
	;; [unrolled: 1-line block ×3, first 2 shown]
	v_fmac_f16_e32 v26, 0x3b9c, v16
	v_add_f16_e32 v32, v3, v4
	v_fmac_f16_e32 v28, 0x38b4, v20
	v_fmac_f16_e32 v22, 0xb8b4, v20
	;; [unrolled: 1-line block ×3, first 2 shown]
	v_add_f16_e32 v20, v30, v31
	v_fmac_f16_e32 v26, 0x38b4, v29
	v_fmac_f16_e32 v17, -0.5, v32
	v_sub_f16_e32 v3, v18, v3
	v_sub_f16_e32 v4, v19, v4
	v_add_f16_e32 v18, v13, v12
	v_fmac_f16_e32 v23, 0x34f2, v20
	v_fmac_f16_e32 v26, 0x34f2, v20
	v_fmamk_f16 v20, v29, 0x3b9c, v17
	v_fmac_f16_e32 v17, 0xbb9c, v29
	v_add_f16_e32 v3, v3, v4
	v_fma_f16 v4, -0.5, v18, v15
	v_lshrrev_b32_e32 v18, 16, v13
	v_lshrrev_b32_e32 v29, 16, v12
	s_waitcnt vmcnt(0)
	v_add_f16_e32 v30, v14, v9
	v_fmac_f16_e32 v28, 0x34f2, v21
	v_fmac_f16_e32 v22, 0x34f2, v21
	v_lshrrev_b32_e32 v19, 16, v14
	v_lshrrev_b32_e32 v21, 16, v9
	v_pk_add_f16 v32, v15, v14
	v_fma_f16 v30, -0.5, v30, v15
	v_add_f16_e32 v35, v18, v29
	v_lshrrev_b32_e32 v15, 16, v15
	v_sub_f16_e32 v36, v12, v9
	v_sub_f16_e32 v37, v13, v14
	;; [unrolled: 1-line block ×5, first 2 shown]
	v_fma_f16 v35, -0.5, v35, v15
	v_sub_f16_e32 v14, v14, v9
	v_add_f16_e32 v36, v37, v36
	v_add_f16_e32 v37, v19, v21
	v_fmac_f16_e32 v20, 0xb8b4, v16
	v_fmac_f16_e32 v17, 0x38b4, v16
	v_sub_f16_e32 v16, v19, v21
	v_add_f16_e32 v33, v34, v33
	v_fmamk_f16 v34, v31, 0xbb9c, v30
	v_fmamk_f16 v38, v14, 0xbb9c, v35
	v_sub_f16_e32 v39, v13, v12
	v_fmac_f16_e32 v15, -0.5, v37
	v_fmac_f16_e32 v30, 0x3b9c, v31
	v_sub_f16_e32 v37, v19, v18
	v_sub_f16_e32 v40, v21, v29
	v_fmac_f16_e32 v20, 0x34f2, v3
	v_fmac_f16_e32 v17, 0x34f2, v3
	v_fmamk_f16 v3, v16, 0x3b9c, v4
	v_fmac_f16_e32 v34, 0x38b4, v16
	v_fmac_f16_e32 v4, 0xbb9c, v16
	v_fmac_f16_e32 v38, 0xb8b4, v39
	v_fmamk_f16 v41, v39, 0x3b9c, v15
	v_sub_f16_e32 v18, v18, v19
	v_sub_f16_e32 v19, v29, v21
	v_fmac_f16_e32 v15, 0xbb9c, v39
	v_add_f16_e32 v21, v37, v40
	v_fmac_f16_e32 v30, 0xb8b4, v16
	v_fmac_f16_e32 v35, 0x3b9c, v14
	v_pk_add_f16 v11, v27, v11
	v_pk_add_f16 v13, v32, v13
	v_fmac_f16_e32 v3, 0x38b4, v31
	v_fmac_f16_e32 v34, 0x34f2, v36
	;; [unrolled: 1-line block ×3, first 2 shown]
	v_add_f16_e32 v16, v18, v19
	v_fmac_f16_e32 v15, 0x38b4, v14
	v_fmac_f16_e32 v38, 0x34f2, v21
	;; [unrolled: 1-line block ×5, first 2 shown]
	v_pk_add_f16 v10, v11, v10
	v_pk_add_f16 v11, v13, v12
	v_and_b32_e32 v12, 0xff, v24
	v_fmac_f16_e32 v3, 0x34f2, v33
	v_fmac_f16_e32 v41, 0x34f2, v16
	;; [unrolled: 1-line block ×3, first 2 shown]
	v_mul_f16_e32 v14, 0x38b4, v38
	v_mul_f16_e32 v16, 0x34f2, v34
	;; [unrolled: 1-line block ×3, first 2 shown]
	v_fmac_f16_e32 v4, 0x34f2, v33
	v_fmac_f16_e32 v35, 0x34f2, v21
	v_mul_f16_e32 v33, 0xbb9c, v34
	v_pk_add_f16 v9, v11, v9
	v_mul_lo_u16 v11, 0xcd, v12
	v_and_b32_e32 v12, 0xff, v5
	v_fmac_f16_e32 v14, 0x3a79, v3
	v_fmac_f16_e32 v16, 0x3b9c, v41
	v_fma_f16 v18, v15, 0x3b9c, -v18
	v_mul_f16_e32 v31, 0x3a79, v4
	v_mul_f16_e32 v3, 0xb8b4, v3
	;; [unrolled: 1-line block ×4, first 2 shown]
	v_fmac_f16_e32 v33, 0x34f2, v41
	v_lshrrev_b16 v11, 11, v11
	v_mul_lo_u16 v12, 0xcd, v12
	v_add_f16_e32 v21, v28, v16
	v_add_f16_e32 v29, v22, v18
	v_fma_f16 v31, v35, 0x38b4, -v31
	v_fmac_f16_e32 v3, 0x3a79, v38
	v_fma_f16 v15, v30, 0xbb9c, -v15
	v_fma_f16 v4, v4, 0xb8b4, -v34
	v_add_f16_e32 v35, v20, v33
	v_sub_f16_e32 v16, v28, v16
	v_sub_f16_e32 v18, v22, v18
	;; [unrolled: 1-line block ×3, first 2 shown]
	v_mul_lo_u16 v22, v11, 10
	v_lshrrev_b16 v12, 11, v12
	v_add_f16_e32 v19, v25, v14
	v_add_f16_e32 v30, v0, v31
	;; [unrolled: 1-line block ×5, first 2 shown]
	v_sub_f16_e32 v0, v0, v31
	v_sub_f16_e32 v13, v17, v15
	v_mul_u32_u24_e32 v15, 10, v24
	v_pk_add_f16 v10, v10, v6
	v_sub_f16_e32 v4, v26, v4
	v_pack_b32_f16 v16, v16, v20
	v_sub_nc_u16 v20, v24, v22
	v_mul_lo_u16 v22, v12, 10
	v_sub_f16_e32 v14, v25, v14
	v_sub_f16_e32 v3, v23, v3
	v_lshl_add_u32 v6, v15, 2, 0
	v_pk_add_f16 v15, v10, v9
	v_pack_b32_f16 v17, v19, v34
	v_pack_b32_f16 v0, v0, v4
	;; [unrolled: 1-line block ×3, first 2 shown]
	v_sub_nc_u16 v13, v5, v22
	v_pack_b32_f16 v19, v21, v35
	v_pack_b32_f16 v21, v29, v36
	v_pk_add_f16 v9, v10, v9 neg_lo:[0,1] neg_hi:[0,1]
	v_pack_b32_f16 v10, v30, v37
	v_pack_b32_f16 v3, v14, v3
	v_and_b32_e32 v23, 0xff, v20
	s_load_b64 s[2:3], s[2:3], 0x0
	ds_store_2addr_b32 v6, v15, v17 offset1:1
	ds_store_2addr_b32 v6, v19, v21 offset0:2 offset1:3
	ds_store_2addr_b32 v6, v10, v9 offset0:4 offset1:5
	;; [unrolled: 1-line block ×4, first 2 shown]
	v_and_b32_e32 v0, 0xff, v13
	s_waitcnt lgkmcnt(0)
	v_lshlrev_b32_e32 v3, 4, v23
	s_barrier
	buffer_gl0_inv
	v_lshlrev_b32_e32 v4, 4, v0
	s_clause 0x1
	global_load_b128 v[13:16], v3, s[8:9]
	global_load_b128 v[17:20], v4, s[8:9]
	v_mad_i32_i24 v10, 0xffffffdc, v24, v6
	v_lshl_add_u32 v3, v5, 2, 0
	v_and_b32_e32 v27, 0xffff, v11
	v_and_b32_e32 v28, 0xffff, v12
	v_lshlrev_b32_e32 v23, 2, v23
	v_add_nc_u32_e32 v4, 0x400, v10
	v_add_nc_u32_e32 v21, 0x800, v10
	;; [unrolled: 1-line block ×3, first 2 shown]
	ds_load_2addr_b32 v[11:12], v10 offset1:170
	ds_load_b32 v9, v3
	ds_load_2addr_b32 v[3:4], v4 offset0:169 offset1:254
	ds_load_2addr_b32 v[21:22], v21 offset0:83 offset1:168
	ds_load_b32 v10, v10 offset:3060
	ds_load_2addr_b32 v[25:26], v5 offset0:127 offset1:212
	v_mul_u32_u24_e32 v5, 0xc8, v27
	v_mul_u32_u24_e32 v27, 0xc8, v28
	v_lshlrev_b32_e32 v0, 2, v0
	v_cmp_gt_u32_e64 s0, 50, v24
	s_waitcnt vmcnt(0) lgkmcnt(0)
	v_add3_u32 v5, 0, v5, v23
	s_barrier
	v_add3_u32 v23, 0, v27, v0
	buffer_gl0_inv
	v_lshrrev_b32_e32 v29, 16, v12
	v_lshrrev_b32_e32 v32, 16, v9
	;; [unrolled: 1-line block ×18, first 2 shown]
	v_mul_f16_e32 v44, v36, v29
	v_mul_f16_e32 v36, v36, v12
	;; [unrolled: 1-line block ×16, first 2 shown]
	v_fma_f16 v12, v13, v12, -v44
	v_fmac_f16_e32 v36, v13, v29
	v_fma_f16 v13, v14, v26, -v45
	v_fmac_f16_e32 v37, v14, v30
	;; [unrolled: 2-line block ×4, first 2 shown]
	v_fmac_f16_e32 v40, v17, v35
	v_fma_f16 v3, v3, v18, -v49
	v_fmac_f16_e32 v41, v0, v18
	v_fma_f16 v0, v21, v19, -v50
	;; [unrolled: 2-line block ×3, first 2 shown]
	v_fma_f16 v17, v10, v20, -v51
	v_fmac_f16_e32 v52, v28, v20
	v_add_f16_e32 v10, v11, v12
	v_add_f16_e32 v15, v13, v4
	;; [unrolled: 1-line block ×5, first 2 shown]
	v_sub_f16_e32 v25, v13, v12
	v_sub_f16_e32 v26, v4, v22
	;; [unrolled: 1-line block ×4, first 2 shown]
	v_add_f16_e32 v45, v3, v0
	v_add_f16_e32 v55, v32, v40
	;; [unrolled: 1-line block ×6, first 2 shown]
	v_sub_f16_e32 v18, v36, v48
	v_sub_f16_e32 v19, v37, v38
	;; [unrolled: 1-line block ×8, first 2 shown]
	v_add_f16_e32 v44, v9, v14
	v_sub_f16_e32 v46, v14, v3
	v_sub_f16_e32 v47, v17, v0
	v_add_f16_e32 v13, v10, v13
	v_fma_f16 v12, -0.5, v15, v11
	v_fmac_f16_e32 v11, -0.5, v21
	v_fma_f16 v39, -0.5, v28, v33
	v_fmac_f16_e32 v33, -0.5, v35
	v_sub_f16_e32 v50, v40, v52
	v_sub_f16_e32 v51, v41, v42
	;; [unrolled: 1-line block ×7, first 2 shown]
	v_add_f16_e32 v21, v25, v26
	v_add_f16_e32 v25, v31, v34
	v_fma_f16 v10, -0.5, v45, v9
	v_add_f16_e32 v31, v55, v41
	v_fma_f16 v41, -0.5, v56, v32
	v_sub_f16_e32 v58, v3, v0
	v_add_f16_e32 v15, v27, v37
	v_fmac_f16_e32 v9, -0.5, v49
	v_fmac_f16_e32 v32, -0.5, v60
	v_add_f16_e32 v20, v16, v20
	v_add_f16_e32 v26, v36, v43
	;; [unrolled: 1-line block ×5, first 2 shown]
	v_fmamk_f16 v4, v18, 0x3b9c, v12
	v_fmac_f16_e32 v12, 0xbb9c, v18
	v_fmamk_f16 v16, v19, 0xbb9c, v11
	v_fmamk_f16 v43, v29, 0xbb9c, v39
	v_fmac_f16_e32 v39, 0x3b9c, v29
	v_fmamk_f16 v46, v30, 0x3b9c, v33
	v_fmac_f16_e32 v11, 0x3b9c, v19
	v_fmac_f16_e32 v33, 0xbb9c, v30
	v_add_f16_e32 v34, v14, v59
	v_fmamk_f16 v14, v50, 0x3b9c, v10
	v_fmamk_f16 v47, v57, 0xbb9c, v41
	v_sub_f16_e32 v54, v0, v17
	v_sub_f16_e32 v61, v42, v52
	v_add_f16_e32 v36, v15, v38
	v_fmamk_f16 v15, v51, 0xbb9c, v9
	v_fmac_f16_e32 v9, 0x3b9c, v51
	v_fmamk_f16 v49, v58, 0x3b9c, v32
	v_fmac_f16_e32 v32, 0xbb9c, v58
	v_add_f16_e32 v37, v3, v0
	v_fmac_f16_e32 v10, 0xbb9c, v50
	v_add_f16_e32 v31, v31, v42
	v_fmac_f16_e32 v41, 0x3b9c, v57
	v_fmac_f16_e32 v4, 0x38b4, v19
	;; [unrolled: 1-line block ×11, first 2 shown]
	v_add_f16_e32 v28, v53, v54
	v_add_f16_e32 v35, v40, v61
	v_fmac_f16_e32 v15, 0x38b4, v50
	v_fmac_f16_e32 v9, 0xb8b4, v50
	;; [unrolled: 1-line block ×4, first 2 shown]
	v_add_f16_e32 v3, v13, v22
	v_add_f16_e32 v0, v36, v48
	v_add_f16_e32 v13, v37, v17
	v_fmac_f16_e32 v10, 0xb8b4, v51
	v_add_f16_e32 v48, v31, v52
	v_fmac_f16_e32 v41, 0x38b4, v58
	v_fmac_f16_e32 v4, 0x34f2, v20
	;; [unrolled: 1-line block ×17, first 2 shown]
	v_pack_b32_f16 v17, v3, v0
	v_pack_b32_f16 v18, v13, v48
	;; [unrolled: 1-line block ×10, first 2 shown]
	ds_store_2addr_b32 v5, v17, v19 offset1:10
	ds_store_2addr_b32 v5, v20, v21 offset0:20 offset1:30
	ds_store_b32 v5, v22 offset:160
	ds_store_2addr_b32 v23, v18, v25 offset1:10
	ds_store_2addr_b32 v23, v26, v27 offset0:20 offset1:30
	ds_store_b32 v23, v28 offset:160
	s_waitcnt lgkmcnt(0)
	s_barrier
	buffer_gl0_inv
                                        ; implicit-def: $vgpr50
                                        ; implicit-def: $vgpr29
                                        ; implicit-def: $vgpr55
                                        ; implicit-def: $vgpr23
                                        ; implicit-def: $vgpr54
                                        ; implicit-def: $vgpr53
                                        ; implicit-def: $vgpr21
                                        ; implicit-def: $vgpr58
                                        ; implicit-def: $vgpr52
                                        ; implicit-def: $vgpr19
                                        ; implicit-def: $vgpr51
	s_and_saveexec_b32 s1, s0
	s_cbranch_execz .LBB0_15
; %bb.14:
	v_mul_i32_i24_e32 v0, 0xffffffdc, v24
	s_delay_alu instid0(VALU_DEP_1)
	v_add_nc_u32_e32 v0, v6, v0
	ds_load_2addr_b32 v[3:4], v0 offset1:50
	ds_load_b32 v29, v0 offset:3200
	ds_load_2addr_b32 v[16:17], v0 offset0:100 offset1:150
	s_waitcnt lgkmcnt(2)
	v_lshrrev_b32_e32 v43, 16, v4
	s_waitcnt lgkmcnt(1)
	v_lshrrev_b32_e32 v50, 16, v29
	s_waitcnt lgkmcnt(0)
	v_mov_b32_e32 v11, v17
	v_add_nc_u32_e32 v5, 0x400, v0
	v_add_nc_u32_e32 v6, 0x600, v0
	ds_load_2addr_b32 v[12:13], v0 offset0:200 offset1:250
	v_add_nc_u32_e32 v0, 0x800, v0
	ds_load_2addr_b32 v[9:10], v5 offset0:144 offset1:194
	ds_load_2addr_b32 v[18:19], v6 offset0:116 offset1:166
	ds_load_2addr_b32 v[20:21], v0 offset0:88 offset1:138
	ds_load_2addr_b32 v[22:23], v0 offset0:188 offset1:238
	ds_load_2addr_b32 v[14:15], v5 offset0:44 offset1:94
	v_lshrrev_b32_e32 v0, 16, v3
	v_lshrrev_b32_e32 v46, 16, v16
	;; [unrolled: 1-line block ×3, first 2 shown]
	s_waitcnt lgkmcnt(5)
	v_lshrrev_b32_e32 v39, 16, v12
	v_lshrrev_b32_e32 v48, 16, v13
	s_waitcnt lgkmcnt(4)
	v_lshrrev_b32_e32 v32, 16, v9
	v_lshrrev_b32_e32 v41, 16, v10
	;; [unrolled: 3-line block ×6, first 2 shown]
.LBB0_15:
	s_or_b32 exec_lo, exec_lo, s1
	v_cmp_gt_u32_e64 s1, 50, v24
	s_delay_alu instid0(VALU_DEP_1) | instskip(NEXT) | instid1(SALU_CYCLE_1)
	s_and_b32 s1, vcc_lo, s1
	s_and_saveexec_b32 s4, s1
	s_cbranch_execz .LBB0_17
; %bb.16:
	v_dual_mov_b32 v6, 0 :: v_dual_lshlrev_b32 v5, 4, v24
	v_mul_lo_u32 v8, s2, v8
	s_delay_alu instid0(VALU_DEP_2) | instskip(NEXT) | instid1(VALU_DEP_1)
	v_add_nc_u32_e32 v17, 0xfffffce0, v5
	v_cndmask_b32_e64 v5, v17, v5, s0
	v_mul_lo_u32 v17, s3, v7
	s_delay_alu instid0(VALU_DEP_2) | instskip(NEXT) | instid1(VALU_DEP_1)
	v_lshlrev_b64 v[5:6], 2, v[5:6]
	v_add_co_u32 v5, vcc_lo, s8, v5
	s_delay_alu instid0(VALU_DEP_2)
	v_add_co_ci_u32_e32 v6, vcc_lo, s9, v6, vcc_lo
	s_clause 0x3
	global_load_b128 v[59:62], v[5:6], off offset:160
	global_load_b128 v[63:66], v[5:6], off offset:208
	;; [unrolled: 1-line block ×4, first 2 shown]
	v_mad_u64_u32 v[5:6], null, s2, v7, 0
	s_delay_alu instid0(VALU_DEP_1) | instskip(NEXT) | instid1(VALU_DEP_1)
	v_add3_u32 v6, v6, v8, v17
	v_lshlrev_b64 v[5:6], 2, v[5:6]
	s_delay_alu instid0(VALU_DEP_1) | instskip(NEXT) | instid1(VALU_DEP_2)
	v_add_co_u32 v5, vcc_lo, s6, v5
	v_add_co_ci_u32_e32 v6, vcc_lo, s7, v6, vcc_lo
	s_waitcnt vmcnt(3)
	v_lshrrev_b32_e32 v7, 16, v59
	s_waitcnt vmcnt(2)
	v_lshrrev_b32_e32 v17, 16, v66
	v_lshrrev_b32_e32 v8, 16, v60
	;; [unrolled: 1-line block ×6, first 2 shown]
	s_waitcnt vmcnt(1)
	v_lshrrev_b32_e32 v31, 16, v67
	s_waitcnt vmcnt(0)
	v_lshrrev_b32_e32 v57, 16, v72
	v_lshrrev_b32_e32 v38, 16, v73
	;; [unrolled: 1-line block ×3, first 2 shown]
	v_mul_f16_e32 v75, v43, v7
	v_mul_f16_e32 v76, v50, v17
	;; [unrolled: 1-line block ×4, first 2 shown]
	v_lshrrev_b32_e32 v26, 16, v64
	v_lshrrev_b32_e32 v34, 16, v68
	;; [unrolled: 1-line block ×4, first 2 shown]
	v_mul_f16_e32 v7, v46, v8
	v_mul_f16_e32 v77, v55, v25
	;; [unrolled: 1-line block ×17, first 2 shown]
	v_fma_f16 v57, v4, v59, -v75
	v_fma_f16 v29, v29, v66, -v76
	v_fmac_f16_e32 v17, v50, v66
	v_fmac_f16_e32 v45, v43, v59
	v_lshrrev_b32_e32 v35, 16, v69
	v_mul_f16_e32 v78, v54, v26
	v_mul_f16_e32 v26, v22, v26
	v_mul_f16_e32 v83, v47, v34
	v_mul_f16_e32 v84, v52, v38
	v_mul_f16_e32 v38, v14, v34
	v_mul_f16_e32 v87, v32, v40
	v_mul_f16_e32 v88, v41, v56
	v_mul_f16_e32 v34, v10, v56
	v_fma_f16 v56, v16, v60, -v7
	v_fma_f16 v16, v23, v65, -v77
	v_fmac_f16_e32 v25, v55, v65
	v_fmac_f16_e32 v44, v46, v60
	;; [unrolled: 1-line block ×3, first 2 shown]
	v_sub_f16_e32 v60, v57, v29
	v_sub_f16_e32 v52, v45, v17
	v_mul_f16_e32 v85, v49, v35
	v_mul_f16_e32 v35, v15, v35
	;; [unrolled: 1-line block ×3, first 2 shown]
	v_fma_f16 v55, v11, v61, -v8
	v_fma_f16 v22, v22, v64, -v78
	v_fmac_f16_e32 v26, v54, v64
	v_fmac_f16_e32 v42, v33, v61
	v_fmac_f16_e32 v38, v47, v68
	v_fmac_f16_e32 v31, v51, v72
	v_fma_f16 v47, v9, v70, -v87
	v_add_f16_e32 v11, v45, v17
	v_sub_f16_e32 v59, v56, v16
	v_add_f16_e32 v9, v57, v29
	v_sub_f16_e32 v51, v44, v25
	v_mul_f16_e64 v149, 0xb1e1, v52
	v_mul_f16_e64 v154, 0xb836, v60
	;; [unrolled: 1-line block ×3, first 2 shown]
	v_mul_f16_e32 v122, 0xba62, v52
	v_mul_f16_e32 v106, 0xbbb2, v60
	;; [unrolled: 1-line block ×5, first 2 shown]
	v_fma_f16 v54, v12, v62, -v79
	v_fma_f16 v21, v21, v63, -v80
	v_fmac_f16_e32 v27, v53, v63
	v_fmac_f16_e32 v37, v39, v62
	;; [unrolled: 1-line block ×4, first 2 shown]
	v_fma_f16 v39, v19, v73, -v84
	v_fma_f16 v48, v15, v69, -v85
	;; [unrolled: 1-line block ×3, first 2 shown]
	v_fmac_f16_e32 v35, v49, v69
	v_fma_f16 v46, v10, v71, -v88
	v_add_f16_e32 v10, v44, v25
	v_sub_f16_e32 v58, v55, v22
	v_add_f16_e32 v8, v56, v16
	v_sub_f16_e32 v49, v42, v26
	v_mul_f16_e64 v172, 0xb1e1, v60
	v_mul_f16_e64 v145, 0x35c8, v51
	;; [unrolled: 1-line block ×4, first 2 shown]
	v_mul_f16_e32 v120, 0x3bb2, v59
	v_mul_f16_e32 v115, 0x3bb2, v51
	;; [unrolled: 1-line block ×8, first 2 shown]
	v_fma_f16 v98, v9, 0xbbdd, -v149
	v_fma_f16 v103, 0xbacd, v11, v154
	v_fma_f16 v117, 0xb8d2, v11, v132
	v_fma_f16 v148, v9, 0xb8d2, -v122
	v_fma_f16 v180, 0xb461, v11, v106
	v_fma_f16 v182, v9, 0xb461, -v89
	;; [unrolled: 2-line block ×3, first 2 shown]
	v_fma_f16 v53, v13, v67, -v81
	v_fma_f16 v20, v20, v74, -v82
	v_add_f16_e32 v4, v42, v26
	v_add_f16_e32 v7, v55, v22
	v_sub_f16_e64 v151, v54, v21
	v_sub_f16_e64 v131, v37, v27
	v_mul_f16_e64 v170, 0x35c8, v59
	v_mul_f16_e64 v136, 0x3b29, v51
	v_mul_f16_e32 v67, 0xba62, v59
	v_mul_f16_e32 v65, 0xba62, v51
	v_mul_f16_e64 v146, 0xb836, v49
	v_mul_f16_e64 v161, 0xbbf7, v58
	v_mul_f16_e32 v126, 0xb5c8, v58
	v_mul_f16_e32 v111, 0xb5c8, v49
	;; [unrolled: 1-line block ×6, first 2 shown]
	v_fma_f16 v82, 0xbbdd, v11, v172
	v_fma_f16 v99, v8, 0x3b76, -v145
	v_fma_f16 v104, 0x3722, v10, v147
	v_fma_f16 v110, v9, 0xbacd, -v138
	v_fmamk_f16 v118, v10, 0xb461, v120
	v_fma_f16 v150, v8, 0xb461, -v115
	v_fma_f16 v181, 0xbacd, v10, v105
	v_fma_f16 v183, v8, 0xbacd, -v86
	v_fma_f16 v185, 0xbbdd, v10, v88
	;; [unrolled: 2-line block ×3, first 2 shown]
	v_fma_f16 v190, v9, 0x3722, -v69
	v_add_f16_e32 v98, v3, v98
	v_add_f16_e32 v103, v0, v103
	;; [unrolled: 1-line block ×3, first 2 shown]
	v_add_f16_e64 v148, v3, v148
	v_add_f16_e64 v180, v0, v180
	;; [unrolled: 1-line block ×5, first 2 shown]
	v_fma_f16 v50, v14, v68, -v83
	v_fmac_f16_e32 v40, v32, v70
	v_add_f16_e32 v13, v37, v27
	v_add_f16_e32 v12, v54, v21
	v_sub_f16_e64 v167, v53, v20
	v_sub_f16_e64 v134, v36, v28
	v_mul_f16_e64 v169, 0xb836, v58
	v_mul_f16_e64 v141, 0xbbf7, v49
	v_mul_f16_e32 v70, 0x31e1, v58
	v_mul_f16_e32 v61, 0x31e1, v49
	v_mul_f16_e64 v152, 0x3964, v131
	v_mul_f16_e64 v156, 0x3a62, v151
	;; [unrolled: 1-line block ×8, first 2 shown]
	v_fma_f16 v83, 0x3b76, v10, v170
	v_fma_f16 v112, v8, 0x3722, -v136
	v_fma_f16 v189, 0xb8d2, v10, v67
	v_fma_f16 v191, v8, 0xb8d2, -v65
	v_fma_f16 v193, v7, 0xbacd, -v146
	v_fma_f16 v194, 0x2de8, v4, v161
	v_fma_f16 v196, 0x3b76, v4, v126
	v_fma_f16 v197, v7, 0x3b76, -v111
	v_fma_f16 v198, 0x39e9, v4, v108
	v_fma_f16 v199, v7, 0x39e9, -v84
	v_fma_f16 v200, 0xb461, v4, v95
	v_fma_f16 v201, v7, 0xb461, -v79
	v_add_f16_e32 v82, v0, v82
	v_add_f16_e32 v110, v3, v110
	;; [unrolled: 1-line block ×5, first 2 shown]
	v_add_f16_e64 v148, v148, v150
	v_add_f16_e64 v180, v180, v181
	;; [unrolled: 1-line block ×7, first 2 shown]
	v_add_f16_e32 v15, v36, v28
	v_add_f16_e32 v14, v53, v20
	v_sub_f16_e64 v171, v50, v39
	v_sub_f16_e64 v139, v38, v30
	v_mul_f16_e64 v176, 0x3964, v151
	v_mul_f16_e64 v142, 0x3a62, v131
	;; [unrolled: 1-line block ×12, first 2 shown]
	v_fma_f16 v192, 0xbacd, v4, v169
	v_fma_f16 v195, v7, 0x2de8, -v141
	v_fma_f16 v202, 0xbbdd, v4, v70
	v_fma_f16 v203, v7, 0xbbdd, -v61
	v_fma_f16 v205, v12, 0x39e9, -v152
	v_fma_f16 v206, 0xb8d2, v13, v156
	v_fma_f16 v208, 0xbacd, v13, v121
	v_fma_f16 v209, v12, 0xbacd, -v116
	v_fma_f16 v210, 0x3722, v13, v109
	v_add_f16_e32 v82, v82, v83
	v_fma_f16 v83, v12, 0x3722, -v87
	v_fmamk_f16 v99, v13, 0x3b76, v90
	v_fma_f16 v104, v12, 0x3b76, -v80
	v_add_f16_e32 v110, v110, v112
	v_add_f16_e64 v188, v188, v189
	v_add_f16_e64 v190, v190, v191
	;; [unrolled: 1-line block ×10, first 2 shown]
	v_fmac_f16_e32 v34, v41, v71
	v_add_f16_e32 v19, v38, v30
	v_add_f16_e32 v18, v50, v39
	v_sub_f16_e64 v173, v48, v43
	v_sub_f16_e64 v158, v35, v31
	v_mul_f16_e64 v178, 0xba62, v167
	v_mul_f16_e64 v144, 0xb5c8, v134
	;; [unrolled: 1-line block ×12, first 2 shown]
	v_fma_f16 v204, 0x39e9, v13, v176
	v_fma_f16 v207, v12, 0xb8d2, -v142
	v_fmamk_f16 v112, v13, 0xb461, v64
	v_fma_f16 v118, v12, 0xb461, -v62
	v_fma_f16 v181, v14, 0xb8d2, -v157
	v_fma_f16 v183, 0x3b76, v15, v159
	v_fma_f16 v187, 0x2de8, v15, v124
	v_fma_f16 v189, v14, 0x2de8, -v123
	v_fma_f16 v191, 0xbbdd, v15, v114
	v_add_f16_e64 v82, v82, v192
	v_fma_f16 v192, v14, 0xbbdd, -v91
	v_fma_f16 v193, 0x3722, v15, v93
	v_fma_f16 v194, v14, 0x3722, -v81
	v_add_f16_e64 v110, v110, v195
	v_add_f16_e64 v188, v188, v202
	;; [unrolled: 1-line block ×11, first 2 shown]
	v_add_f16_e32 v23, v35, v31
	v_add_f16_e32 v32, v48, v43
	v_sub_f16_e64 v177, v47, v46
	v_sub_f16_e64 v168, v40, v34
	v_mul_f16_e64 v179, 0x3b29, v171
	v_mul_f16_e64 v137, 0xb1e1, v139
	;; [unrolled: 1-line block ×12, first 2 shown]
	v_fma_f16 v150, 0xb8d2, v15, v178
	v_fma_f16 v185, v14, 0x3b76, -v144
	v_fma_f16 v195, 0x39e9, v15, v68
	v_fma_f16 v196, v14, 0x39e9, -v63
	v_fma_f16 v198, v18, 0x3722, -v160
	v_fma_f16 v199, 0xbbdd, v19, v162
	v_fma_f16 v201, 0x39e9, v19, v127
	v_fma_f16 v202, v18, 0x39e9, -v125
	v_fma_f16 v203, 0x2de8, v19, v119
	v_add_f16_e64 v82, v82, v204
	v_fma_f16 v204, v18, 0x2de8, -v94
	v_fma_f16 v205, 0xbacd, v19, v96
	v_fma_f16 v206, v18, 0xbacd, -v75
	v_add_f16_e64 v110, v110, v207
	v_add_f16_e64 v112, v188, v112
	;; [unrolled: 1-line block ×11, first 2 shown]
	v_add_f16_e32 v41, v40, v34
	v_add_f16_e32 v33, v47, v46
	v_mul_f16_e64 v72, 0xbbf7, v173
	v_mul_f16_e64 v164, 0x3bf7, v168
	;; [unrolled: 1-line block ×9, first 2 shown]
	v_fma_f16 v197, 0x3722, v19, v179
	v_fma_f16 v200, v18, 0xbbdd, -v137
	v_fma_f16 v207, 0x3b76, v19, v71
	v_fma_f16 v208, v18, 0x3b76, -v66
	v_fma_f16 v210, v32, 0xb461, -v163
	v_fma_f16 v182, 0x39e9, v23, v165
	v_fma_f16 v186, 0xbbdd, v23, v129
	v_fma_f16 v188, v32, 0xbbdd, -v128
	v_fma_f16 v190, 0x3b76, v23, v107
	v_add_f16_e64 v82, v82, v150
	v_fma_f16 v150, v32, 0x3b76, -v97
	v_fma_f16 v181, 0xb8d2, v23, v100
	v_fma_f16 v183, v32, 0xb8d2, -v77
	v_add_f16_e64 v110, v110, v185
	v_add_f16_e64 v112, v112, v195
	;; [unrolled: 1-line block ×11, first 2 shown]
	v_mul_f16_e64 v135, 0xbbf7, v158
	v_mul_f16_e64 v153, 0xbbf7, v59
	v_fma_f16 v185, 0x2de8, v23, v72
	v_fma_f16 v189, v33, 0x2de8, -v164
	v_fma_f16 v191, 0xb461, v41, v166
	v_fma_f16 v193, 0x3722, v41, v133
	v_fma_f16 v194, v33, 0x3722, -v130
	v_fma_f16 v196, v33, 0xb8d2, -v101
	v_add_f16_e64 v82, v82, v197
	v_fma_f16 v197, 0x39e9, v41, v102
	v_fma_f16 v198, v33, 0x39e9, -v85
	v_fma_f16 v199, 0x39e9, v11, v155
	v_add_f16_e64 v110, v110, v200
	v_add_f16_e64 v112, v112, v207
	;; [unrolled: 1-line block ×11, first 2 shown]
	v_mul_f16_e64 v140, 0x3964, v158
	v_add_f16_e64 v201, v112, v185
	v_add_f16_e64 v83, v98, v189
	;; [unrolled: 1-line block ×9, first 2 shown]
	v_fma_f16 v180, 0x2de8, v10, v153
	v_mul_f16_e64 v189, 0xba62, v58
	v_fma_f16 v181, v32, 0x2de8, -v135
	v_mul_f16_e64 v186, 0xb964, v52
	v_mul_f16_e64 v174, 0xbbb2, v173
	;; [unrolled: 1-line block ×3, first 2 shown]
	v_fma_f16 v184, v32, 0x39e9, -v140
	v_add_f16_e64 v150, v150, v180
	v_fma_f16 v180, 0xb8d2, v4, v189
	v_mul_f16_e64 v190, 0xb1e1, v151
	v_add_f16_e64 v193, v200, v181
	v_fma_f16 v181, v9, 0x39e9, -v186
	v_mul_f16_e64 v182, 0xbbf7, v51
	v_mul_f16_e64 v175, 0x3bf7, v177
	v_fma_f16 v209, 0xb461, v23, v174
	v_fma_f16 v192, v33, 0xb461, -v143
	v_add_f16_e64 v110, v110, v184
	v_add_f16_e64 v150, v150, v180
	v_fma_f16 v180, 0xbbdd, v13, v190
	v_mul_f16_e64 v191, 0x3836, v167
	v_add_f16_e64 v181, v3, v181
	v_fma_f16 v184, v8, 0x2de8, -v182
	v_mul_f16_e64 v183, 0xba62, v49
	v_mul_f16_e64 v113, 0xba62, v177
	v_fma_f16 v187, 0x2de8, v41, v175
	v_add_f16_e64 v82, v82, v209
	v_add_f16_e64 v99, v110, v192
	;; [unrolled: 1-line block ×3, first 2 shown]
	v_fma_f16 v180, 0xbacd, v15, v191
	v_mul_f16_e64 v192, 0x3bb2, v171
	v_add_f16_e64 v181, v181, v184
	v_fma_f16 v185, v7, 0xb8d2, -v183
	v_mul_f16_e64 v184, 0xb1e1, v131
	v_fma_f16 v195, 0xb8d2, v41, v113
	v_add_f16_e64 v82, v82, v187
	v_mul_f16_e64 v187, 0xb836, v168
	v_add_f16_e64 v150, v150, v180
	v_fma_f16 v180, 0xb461, v19, v192
	v_mul_f16_e64 v188, 0x3b29, v173
	v_add_f16_e64 v181, v181, v185
	v_fma_f16 v194, v12, 0xbbdd, -v184
	v_mul_f16_e64 v185, 0x3836, v134
	v_add_f16_e64 v110, v148, v195
	v_add_f16_e64 v150, v150, v180
	v_fma_f16 v195, 0x3722, v23, v188
	v_mul_f16_e64 v180, 0x35c8, v177
	v_add_f16_e64 v194, v181, v194
	v_fma_f16 v196, v14, 0xbacd, -v185
	v_mul_f16_e64 v181, 0x3bb2, v139
	v_fma_f16 v197, v33, 0xbacd, -v187
	v_add_f16_e64 v195, v150, v195
	v_fma_f16 v198, 0x3b76, v41, v180
	v_add_f16_e64 v194, v194, v196
	v_fma_f16 v196, v18, 0xb461, -v181
	v_add_f16_e64 v150, v193, v197
	v_mul_f16_e64 v193, 0xb5c8, v60
	v_add_f16_e64 v60, v195, v198
	v_add_f16_e64 v195, v3, v57
	;; [unrolled: 1-line block ×4, first 2 shown]
	v_fma_f16 v197, 0x3b76, v11, v193
	v_mul_f16_e32 v57, 0xb964, v59
	v_add_f16_e64 v56, v195, v56
	v_mul_f16_e32 v49, 0xbb29, v49
	v_add_f16_e64 v59, v196, v44
	v_add_f16_e64 v195, v0, v197
	v_fma_f16 v196, 0x39e9, v10, v57
	v_mul_f16_e32 v44, 0xbb29, v58
	v_add_f16_e32 v55, v56, v55
	v_add_f16_e32 v56, v59, v42
	v_mul_f16_e64 v42, 0xbbf7, v151
	v_add_f16_e64 v59, v195, v196
	v_fma_f16 v195, 0x3722, v4, v44
	v_add_f16_e32 v55, v55, v54
	v_add_f16_e32 v56, v56, v37
	v_fma_f16 v151, 0x2de8, v13, v42
	v_mul_f16_e64 v54, 0xbbb2, v167
	v_add_f16_e64 v59, v59, v195
	v_add_f16_e32 v55, v55, v53
	v_add_f16_e32 v36, v56, v36
	v_mul_f16_e64 v53, 0xba62, v171
	v_fmac_f16_e64 v149, 0xbbdd, v9
	v_add_f16_e64 v56, v59, v151
	v_fmamk_f16 v59, v15, 0xb461, v54
	v_add_f16_e32 v55, v55, v50
	v_add_f16_e32 v38, v36, v38
	v_mul_f16_e32 v50, 0xb5c8, v52
	v_fmac_f16_e64 v145, 0x3b76, v8
	v_add_f16_e32 v56, v56, v59
	v_fmamk_f16 v59, v19, 0xb8d2, v53
	v_add_f16_e32 v52, v55, v48
	v_add_f16_e32 v38, v38, v35
	v_mul_f16_e32 v48, 0xb964, v51
	v_mul_f16_e64 v35, 0xb836, v173
	v_add_f16_e32 v55, v56, v59
	v_fma_f16 v56, v9, 0x3b76, -v50
	v_add_f16_e32 v47, v52, v47
	v_add_f16_e32 v38, v38, v40
	v_fma_f16 v51, v8, 0x39e9, -v48
	v_fmamk_f16 v52, v23, 0xbacd, v35
	v_add_f16_e32 v40, v3, v56
	v_add_f16_e32 v46, v47, v46
	;; [unrolled: 1-line block ×3, first 2 shown]
	v_mul_f16_e64 v47, 0xbbf7, v131
	v_fmac_f16_e64 v146, 0xbacd, v7
	v_add_f16_e32 v38, v40, v51
	v_fma_f16 v40, v7, 0x3722, -v49
	v_add_f16_e32 v43, v43, v46
	v_add_f16_e32 v34, v31, v34
	v_mul_f16_e64 v46, 0xba62, v139
	v_add_f16_e32 v51, v55, v52
	v_add_f16_e32 v38, v38, v40
	v_fma_f16 v40, v12, 0x2de8, -v47
	v_add_f16_e32 v39, v39, v43
	v_add_f16_e32 v30, v30, v34
	v_mul_f16_e64 v43, 0xbbb2, v134
	v_mul_f16_e64 v52, 0xb1e1, v168
	v_add_f16_e32 v34, v38, v40
	v_fma_f16 v40, v11, 0xbbdd, -v172
	v_add_f16_e32 v20, v20, v39
	v_fma_f16 v39, v14, 0xb461, -v43
	v_add_f16_e32 v28, v28, v30
	v_fmac_f16_e64 v138, 0xbacd, v9
	v_add_f16_e32 v30, v0, v40
	v_fma_f16 v40, v10, 0x3b76, -v170
	v_add_f16_e32 v34, v34, v39
	v_add_f16_e32 v20, v21, v20
	v_fma_f16 v21, v18, 0xb8d2, -v46
	v_mul_f16_e64 v39, 0xb836, v158
	v_add_f16_e32 v30, v30, v40
	v_fma_f16 v40, v4, 0xbacd, -v169
	v_add_f16_e32 v27, v27, v28
	v_add_f16_e32 v21, v34, v21
	v_fma_f16 v28, v32, 0xbacd, -v39
	v_fma_f16 v34, v13, 0x39e9, -v176
	v_add_f16_e32 v30, v30, v40
	v_add_f16_e32 v20, v22, v20
	;; [unrolled: 1-line block ×4, first 2 shown]
	v_fma_f16 v26, v33, 0xbbdd, -v52
	v_add_f16_e32 v30, v30, v34
	v_fma_f16 v34, v15, 0xb8d2, -v178
	v_add_f16_e32 v16, v16, v20
	v_add_f16_e32 v20, v25, v22
	;; [unrolled: 1-line block ×3, first 2 shown]
	v_fma_f16 v22, v19, 0x3722, -v179
	v_add_f16_e32 v21, v30, v34
	v_add_f16_e32 v29, v29, v16
	v_fma_f16 v16, v11, 0xbacd, -v154
	v_add_f16_e32 v30, v17, v20
	v_fma_f16 v20, v23, 0xb461, -v174
	v_add_f16_e32 v17, v21, v22
	v_add_f16_e64 v21, v3, v149
	v_add_f16_e32 v16, v0, v16
	v_fma_f16 v22, v10, 0x3722, -v147
	v_fma_f16 v25, v4, 0x2de8, -v161
	v_add_f16_e32 v17, v17, v20
	v_fma_f16 v20, v41, 0x2de8, -v175
	v_add_f16_e64 v21, v21, v145
	v_add_f16_e32 v22, v16, v22
	v_fmac_f16_e64 v136, 0x3722, v8
	v_fmac_f16_e64 v141, 0x2de8, v7
	v_add_f16_e32 v16, v17, v20
	v_add_f16_e64 v17, v21, v146
	v_add_f16_e32 v20, v22, v25
	v_fma_f16 v21, v13, 0xb8d2, -v156
	v_add_f16_e64 v22, v3, v138
	v_fmac_f16_e64 v142, 0xb8d2, v12
	v_fmac_f16_e64 v144, 0x3b76, v14
	;; [unrolled: 1-line block ×3, first 2 shown]
	v_add_f16_e32 v20, v20, v21
	v_fma_f16 v21, v15, 0x3b76, -v159
	v_add_f16_e64 v22, v22, v136
	v_fma_f16 v25, v11, 0xb8d2, -v132
	v_mul_f16_e64 v31, 0xb1e1, v177
	v_fma_f16 v34, v11, 0xb461, -v106
	v_add_f16_e32 v20, v20, v21
	v_fma_f16 v21, v19, 0xbbdd, -v162
	v_add_f16_e64 v22, v22, v141
	v_fmamk_f16 v38, v41, 0xbbdd, v31
	v_add_f16_e32 v34, v0, v34
	v_fmac_f16_e32 v89, 0xb461, v9
	v_add_f16_e32 v20, v20, v21
	v_fma_f16 v21, v23, 0x39e9, -v165
	v_add_f16_e64 v22, v22, v142
	v_add_f16_e32 v27, v51, v38
	v_fma_f16 v38, v10, 0xbacd, -v105
	v_add_f16_e32 v40, v3, v89
	v_add_f16_e32 v20, v20, v21
	v_fma_f16 v21, v41, 0xb461, -v166
	v_add_f16_e64 v22, v22, v144
	v_add_f16_e32 v34, v34, v38
	v_fma_f16 v38, v4, 0x39e9, -v108
	v_fmac_f16_e32 v86, 0xbacd, v8
	v_add_f16_e32 v20, v20, v21
	v_add_f16_e64 v21, v22, v137
	v_add_f16_e32 v22, v0, v25
	v_fma_f16 v25, v10, 0xb461, -v120
	v_add_f16_e32 v34, v34, v38
	v_fma_f16 v38, v13, 0x3722, -v109
	v_fma_f16 v51, v10, 0xbbdd, -v88
	v_add_f16_e32 v40, v40, v86
	v_add_f16_e32 v22, v22, v25
	v_fma_f16 v25, v4, 0x3b76, -v126
	v_add_f16_e32 v34, v34, v38
	v_fma_f16 v38, v15, 0xbbdd, -v114
	v_fmac_f16_e32 v84, 0x39e9, v7
	v_fma_f16 v55, v4, 0xb461, -v95
	v_add_f16_e32 v22, v22, v25
	v_fma_f16 v25, v13, 0xbacd, -v121
	v_add_f16_e32 v34, v34, v38
	v_fma_f16 v38, v19, 0x2de8, -v119
	v_fmac_f16_e32 v78, 0x2de8, v9
	v_fmac_f16_e32 v76, 0xbbdd, v8
	v_add_f16_e32 v22, v22, v25
	v_fma_f16 v25, v15, 0x2de8, -v124
	v_add_f16_e32 v34, v34, v38
	v_fma_f16 v38, v23, 0x3b76, -v107
	v_fmac_f16_e32 v79, 0xb461, v7
	v_fmac_f16_e32 v80, 0x3b76, v12
	v_add_f16_e32 v22, v22, v25
	v_fma_f16 v25, v19, 0x39e9, -v127
	v_add_f16_e32 v34, v34, v38
	v_fma_f16 v38, v41, 0xb8d2, -v113
	v_mul_f16_e64 v45, 0x3b29, v158
	v_fmac_f16_e32 v81, 0x3722, v14
	v_add_f16_e32 v22, v22, v25
	v_fma_f16 v25, v23, 0xbbdd, -v129
	v_mul_f16_e64 v37, 0x35c8, v168
	v_fma_f16 v58, v32, 0x3722, -v45
	v_fmac_f16_e32 v75, 0xbacd, v18
	v_fmac_f16_e32 v69, 0x3722, v9
	v_add_f16_e32 v22, v22, v25
	v_fma_f16 v25, v41, 0x3722, -v133
	v_add_f16_e64 v58, v194, v58
	v_fma_f16 v151, v33, 0x3b76, -v37
	v_add_f16_e32 v56, v3, v69
	v_fmac_f16_e32 v65, 0xb8d2, v8
	v_add_f16_e32 v22, v22, v25
	v_fma_f16 v25, v11, 0x2de8, -v92
	v_add_f16_e64 v36, v58, v151
	v_fmac_f16_e32 v61, 0xbbdd, v7
	v_add_f16_e32 v56, v56, v65
	v_fma_f16 v58, v11, 0x39e9, -v155
	v_add_f16_e32 v25, v0, v25
	v_fmac_f16_e32 v62, 0xb461, v12
	v_fma_f16 v59, v10, 0x2de8, -v153
	v_add_f16_e32 v56, v56, v61
	v_add_f16_e32 v58, v0, v58
	;; [unrolled: 1-line block ×5, first 2 shown]
	v_fma_f16 v40, v13, 0x3b76, -v90
	v_add_f16_e32 v56, v56, v62
	v_add_f16_e32 v38, v51, v55
	;; [unrolled: 1-line block ×3, first 2 shown]
	v_fma_f16 v55, v11, 0x3722, -v73
	v_fmac_f16_e32 v63, 0x39e9, v14
	v_add_f16_e32 v58, v58, v59
	v_add_f16_e32 v38, v38, v40
	v_fma_f16 v40, v15, 0x3722, -v93
	v_add_f16_e32 v51, v51, v76
	v_fma_f16 v59, v4, 0xb8d2, -v189
	v_add_f16_e32 v56, v56, v63
	v_fmac_f16_e32 v66, 0x3b76, v18
	v_add_f16_e32 v38, v38, v40
	v_fma_f16 v40, v19, 0xbacd, -v96
	v_add_f16_e32 v51, v51, v79
	v_add_f16_e32 v58, v58, v59
	v_fma_f16 v59, v13, 0xbbdd, -v190
	v_mul_f16_e64 v74, 0xb836, v177
	v_add_f16_e32 v38, v38, v40
	v_fma_f16 v40, v23, 0xb8d2, -v100
	v_add_f16_e32 v51, v51, v80
	v_add_f16_e32 v56, v56, v66
	v_fmac_f16_e64 v135, 0x2de8, v32
	v_add_f16_e32 v58, v58, v59
	v_add_f16_e32 v38, v38, v40
	v_fma_f16 v40, v41, 0x39e9, -v102
	v_add_f16_e32 v51, v51, v81
	v_fma_f16 v59, v15, 0xbacd, -v191
	v_fma_f16 v11, v11, 0x3b76, -v193
	v_add_f16_e64 v56, v56, v135
	v_add_f16_e32 v38, v38, v40
	v_add_f16_e32 v40, v51, v75
	;; [unrolled: 1-line block ×3, first 2 shown]
	v_fma_f16 v55, v10, 0xb8d2, -v67
	v_fmac_f16_e64 v187, 0xbacd, v33
	v_add_f16_e32 v58, v58, v59
	v_fma_f16 v59, v19, 0xb461, -v192
	v_fmac_f16_e64 v186, 0x39e9, v9
	v_add_f16_e32 v51, v51, v55
	v_fma_f16 v55, v4, 0xbbdd, -v70
	v_fmac_f16_e32 v122, 0xb8d2, v9
	v_add_f16_e32 v0, v0, v11
	v_fma_f16 v10, v10, 0x39e9, -v57
	v_fmac_f16_e32 v50, 0x3b76, v9
	v_add_f16_e32 v51, v51, v55
	v_fma_f16 v55, v13, 0xb461, -v64
	v_fmac_f16_e64 v182, 0x2de8, v8
	v_add_f16_e32 v26, v3, v122
	v_add_f16_e32 v0, v0, v10
	v_fma_f16 v4, v4, 0x3722, -v44
	v_add_f16_e32 v51, v51, v55
	v_fma_f16 v55, v15, 0x39e9, -v68
	v_fmac_f16_e32 v48, 0x39e9, v8
	v_fmac_f16_e64 v183, 0xb8d2, v7
	v_add_f16_e32 v0, v0, v4
	v_fma_f16 v4, v13, 0x2de8, -v42
	v_add_f16_e32 v51, v51, v55
	v_fma_f16 v55, v19, 0x3b76, -v71
	v_fmac_f16_e32 v49, 0x3722, v7
	v_fmac_f16_e32 v115, 0xb461, v8
	v_fmac_f16_e64 v184, 0xbbdd, v12
	v_add_f16_e32 v0, v0, v4
	v_add_f16_e32 v51, v51, v55
	v_fma_f16 v55, v23, 0x2de8, -v72
	v_fma_f16 v4, v15, 0xb461, -v54
	v_fmac_f16_e32 v47, 0x2de8, v12
	v_fmac_f16_e32 v111, 0x3b76, v7
	v_fmac_f16_e64 v185, 0xbacd, v14
	v_add_f16_e32 v51, v51, v55
	v_fma_f16 v55, v41, 0xbacd, -v74
	v_add_f16_e32 v0, v0, v4
	v_fma_f16 v4, v19, 0xb8d2, -v53
	v_fmac_f16_e32 v43, 0xb461, v14
	v_fmac_f16_e64 v181, 0xb461, v18
	v_add_f16_e32 v51, v51, v55
	v_add_f16_e64 v55, v56, v187
	v_add_f16_e32 v56, v58, v59
	v_add_f16_e64 v59, v3, v186
	v_add_f16_e32 v3, v3, v50
	v_add_f16_e32 v0, v0, v4
	v_fmac_f16_e32 v45, 0x3722, v32
	v_fmac_f16_e32 v46, 0xb8d2, v18
	v_add_f16_e64 v9, v59, v182
	v_add_f16_e32 v3, v3, v48
	v_fmac_f16_e64 v152, 0x39e9, v12
	v_fmac_f16_e32 v116, 0xbacd, v12
	v_fmac_f16_e32 v87, 0x3722, v12
	v_add_f16_e64 v8, v9, v183
	v_add_f16_e32 v3, v3, v49
	v_fma_f16 v9, v23, 0xbacd, -v35
	v_fmac_f16_e32 v39, 0xbacd, v32
	v_fmac_f16_e32 v52, 0xbbdd, v33
	v_add_f16_e64 v7, v8, v184
	v_add_f16_e32 v3, v3, v47
	v_add_f16_e32 v13, v0, v9
	v_fmac_f16_e64 v157, 0xb8d2, v14
	v_fmac_f16_e32 v123, 0x2de8, v14
	v_add_f16_e64 v7, v7, v185
	v_add_f16_e32 v8, v3, v43
	v_mad_u64_u32 v[3:4], null, s12, v24, 0
	v_fmac_f16_e32 v91, 0xbbdd, v14
	s_delay_alu instid0(VALU_DEP_4)
	v_add_f16_e64 v7, v7, v181
	v_fma_f16 v14, v41, 0xbbdd, -v31
	v_fmac_f16_e32 v37, 0x3b76, v33
	v_fma_f16 v58, v23, 0x3722, -v188
	v_fma_f16 v10, v41, 0x3b76, -v180
	v_mov_b32_e32 v0, v4
	v_add_f16_e32 v12, v7, v45
	v_add_f16_e32 v7, v8, v46
	;; [unrolled: 1-line block ×4, first 2 shown]
	v_fmac_f16_e64 v160, 0x3722, v18
	v_add_f16_e32 v19, v12, v37
	v_add_f16_e32 v4, v7, v39
	v_mad_u64_u32 v[7:8], null, s13, v24, v[0:1]
	v_add_nc_u32_e32 v15, 50, v24
	v_lshlrev_b64 v[1:2], 2, v[1:2]
	s_delay_alu instid0(VALU_DEP_4)
	v_add_f16_e32 v31, v4, v52
	v_fmac_f16_e32 v125, 0x39e9, v18
	v_fmac_f16_e32 v94, 0x2de8, v18
	v_add_f16_e32 v18, v11, v10
	v_mov_b32_e32 v4, v7
	v_mad_u64_u32 v[8:9], null, s12, v15, 0
	v_fmac_f16_e64 v163, 0xb461, v32
	v_fmac_f16_e64 v140, 0x39e9, v32
	;; [unrolled: 1-line block ×3, first 2 shown]
	v_fmac_f16_e32 v97, 0x3b76, v32
	v_fmac_f16_e32 v77, 0xb8d2, v32
	v_add_co_u32 v32, vcc_lo, v5, v1
	v_mov_b32_e32 v0, v9
	v_fmac_f16_e64 v164, 0x2de8, v33
	v_fmac_f16_e64 v143, 0xb461, v33
	v_fmac_f16_e64 v130, 0x3722, v33
	v_fmac_f16_e32 v101, 0xb8d2, v33
	v_mad_u64_u32 v[12:13], null, s13, v15, v[0:1]
	v_add_nc_u32_e32 v13, 0x96, v24
	v_add_nc_u32_e32 v14, 0x64, v24
	v_fmac_f16_e32 v85, 0x39e9, v33
	v_add_co_ci_u32_e32 v33, vcc_lo, v6, v2, vcc_lo
	v_lshlrev_b64 v[1:2], 2, v[3:4]
	v_mov_b32_e32 v9, v12
	v_mad_u64_u32 v[10:11], null, s12, v14, 0
	v_mad_u64_u32 v[6:7], null, s12, v13, 0
	v_pack_b32_f16 v29, v29, v30
	v_add_nc_u32_e32 v30, 0xc8, v24
	v_pack_b32_f16 v27, v28, v27
	v_fma_f16 v148, 0xbacd, v41, v74
	v_mov_b32_e32 v0, v11
	v_add_f16_e64 v17, v17, v152
	v_add_f16_e64 v21, v21, v140
	v_add_f16_e32 v26, v26, v115
	v_add_f16_e64 v148, v201, v148
	v_mad_u64_u32 v[3:4], null, s13, v14, v[0:1]
	v_lshlrev_b64 v[4:5], 2, v[8:9]
	v_add_co_u32 v0, vcc_lo, v32, v1
	v_add_co_ci_u32_e32 v1, vcc_lo, v33, v2, vcc_lo
	v_add_f16_e64 v17, v17, v157
	v_mov_b32_e32 v11, v3
	v_add_co_u32 v2, vcc_lo, v32, v4
	v_mov_b32_e32 v4, v7
	v_add_co_ci_u32_e32 v3, vcc_lo, v33, v5, vcc_lo
	s_delay_alu instid0(VALU_DEP_4) | instskip(SKIP_1) | instid1(VALU_DEP_4)
	v_lshlrev_b64 v[7:8], 2, v[10:11]
	v_mad_u64_u32 v[9:10], null, s12, v30, 0
	v_mad_u64_u32 v[11:12], null, s13, v13, v[4:5]
	v_add_nc_u32_e32 v28, 0xfa, v24
	s_delay_alu instid0(VALU_DEP_4)
	v_add_co_u32 v4, vcc_lo, v32, v7
	v_add_co_ci_u32_e32 v5, vcc_lo, v33, v8, vcc_lo
	v_mov_b32_e32 v7, v10
	v_pack_b32_f16 v8, v36, v60
	s_clause 0x2
	global_store_b32 v[0:1], v29, off
	global_store_b32 v[2:3], v27, off
	;; [unrolled: 1-line block ×3, first 2 shown]
	v_pack_b32_f16 v27, v150, v148
	v_mad_u64_u32 v[14:15], null, s13, v30, v[7:8]
	v_mov_b32_e32 v7, v11
	v_mad_u64_u32 v[12:13], null, s12, v28, 0
	v_add_nc_u32_e32 v15, 0x12c, v24
	v_add_f16_e64 v17, v17, v160
	s_delay_alu instid0(VALU_DEP_4)
	v_lshlrev_b64 v[1:2], 2, v[6:7]
	v_mov_b32_e32 v10, v14
	v_add_f16_e64 v21, v21, v143
	v_add_f16_e32 v26, v26, v111
	v_mov_b32_e32 v0, v13
	v_add_f16_e64 v17, v17, v163
	v_lshlrev_b64 v[6:7], 2, v[9:10]
	v_add_f16_e32 v34, v34, v87
	v_add_f16_e32 v26, v26, v116
	v_mad_u64_u32 v[3:4], null, s13, v28, v[0:1]
	v_mad_u64_u32 v[4:5], null, s12, v15, 0
	v_add_nc_u32_e32 v28, 0x15e, v24
	v_add_co_u32 v0, vcc_lo, v32, v1
	v_add_co_ci_u32_e32 v1, vcc_lo, v33, v2, vcc_lo
	s_delay_alu instid0(VALU_DEP_3) | instskip(SKIP_3) | instid1(VALU_DEP_3)
	v_mad_u64_u32 v[8:9], null, s12, v28, 0
	v_dual_mov_b32 v13, v3 :: v_dual_mov_b32 v2, v5
	v_pack_b32_f16 v3, v118, v117
	v_add_co_u32 v6, vcc_lo, v32, v6
	v_lshlrev_b64 v[10:11], 2, v[12:13]
	v_add_co_ci_u32_e32 v7, vcc_lo, v33, v7, vcc_lo
	s_delay_alu instid0(VALU_DEP_4) | instskip(SKIP_1) | instid1(VALU_DEP_4)
	v_mad_u64_u32 v[12:13], null, s13, v15, v[2:3]
	v_dual_mov_b32 v2, v9 :: v_dual_add_nc_u32 v15, 0x1f4, v24
	v_add_co_u32 v9, vcc_lo, v32, v10
	v_add_co_ci_u32_e32 v10, vcc_lo, v33, v11, vcc_lo
	s_delay_alu instid0(VALU_DEP_3)
	v_mad_u64_u32 v[13:14], null, s13, v28, v[2:3]
	v_pack_b32_f16 v11, v112, v110
	v_dual_mov_b32 v5, v12 :: v_dual_add_nc_u32 v12, 0x190, v24
	v_add_nc_u32_e32 v14, 0x1c2, v24
	s_clause 0x2
	global_store_b32 v[0:1], v27, off
	global_store_b32 v[6:7], v3, off
	;; [unrolled: 1-line block ×3, first 2 shown]
	v_add_f16_e64 v17, v17, v164
	v_mov_b32_e32 v9, v13
	v_lshlrev_b64 v[0:1], 2, v[4:5]
	v_mad_u64_u32 v[2:3], null, s12, v12, 0
	v_mad_u64_u32 v[4:5], null, s12, v14, 0
	s_delay_alu instid0(VALU_DEP_4)
	v_lshlrev_b64 v[6:7], 2, v[8:9]
	v_mad_u64_u32 v[8:9], null, s12, v15, 0
	v_add_co_u32 v0, vcc_lo, v32, v0
	v_add_co_ci_u32_e32 v1, vcc_lo, v33, v1, vcc_lo
	v_mad_u64_u32 v[10:11], null, s13, v12, v[3:4]
	v_mad_u64_u32 v[11:12], null, s13, v14, v[5:6]
	v_pack_b32_f16 v13, v104, v103
	v_add_co_u32 v6, vcc_lo, v32, v6
	v_add_co_ci_u32_e32 v7, vcc_lo, v33, v7, vcc_lo
	v_mov_b32_e32 v3, v10
	v_mov_b32_e32 v5, v11
	v_mad_u64_u32 v[10:11], null, s13, v15, v[9:10]
	v_add_nc_u32_e32 v11, 0x226, v24
	v_pack_b32_f16 v12, v99, v98
	global_store_b32 v[0:1], v13, off
	v_lshlrev_b64 v[0:1], 2, v[2:3]
	v_lshlrev_b64 v[2:3], 2, v[4:5]
	v_mad_u64_u32 v[4:5], null, s12, v11, 0
	v_mov_b32_e32 v9, v10
	global_store_b32 v[6:7], v12, off
	v_add_co_u32 v0, vcc_lo, v32, v0
	v_add_co_ci_u32_e32 v1, vcc_lo, v33, v1, vcc_lo
	v_lshlrev_b64 v[6:7], 2, v[8:9]
	v_add_co_u32 v2, vcc_lo, v32, v2
	v_add_co_ci_u32_e32 v3, vcc_lo, v33, v3, vcc_lo
	v_pack_b32_f16 v10, v83, v82
	s_delay_alu instid0(VALU_DEP_4)
	v_mad_u64_u32 v[8:9], null, s13, v11, v[5:6]
	v_add_co_u32 v6, vcc_lo, v32, v6
	v_pack_b32_f16 v9, v17, v16
	v_add_co_ci_u32_e32 v7, vcc_lo, v33, v7, vcc_lo
	v_pack_b32_f16 v11, v21, v20
	global_store_b32 v[0:1], v10, off
	v_dual_mov_b32 v5, v8 :: v_dual_add_nc_u32 v10, 0x258, v24
	s_clause 0x1
	global_store_b32 v[2:3], v9, off
	global_store_b32 v[6:7], v11, off
	v_add_nc_u32_e32 v11, 0x28a, v24
	v_add_f16_e32 v26, v26, v123
	v_lshlrev_b64 v[0:1], 2, v[4:5]
	v_mad_u64_u32 v[2:3], null, s12, v10, 0
	s_delay_alu instid0(VALU_DEP_4) | instskip(SKIP_4) | instid1(VALU_DEP_4)
	v_mad_u64_u32 v[4:5], null, s12, v11, 0
	v_add_nc_u32_e32 v12, 0x2bc, v24
	v_add_f16_e32 v26, v26, v125
	v_add_co_u32 v0, vcc_lo, v32, v0
	v_add_co_ci_u32_e32 v1, vcc_lo, v33, v1, vcc_lo
	v_mad_u64_u32 v[6:7], null, s12, v12, 0
	v_mad_u64_u32 v[8:9], null, s13, v10, v[3:4]
	v_add_f16_e64 v26, v26, v128
	v_add_nc_u32_e32 v14, 0x2ee, v24
	v_add_f16_e32 v34, v34, v91
	v_add_f16_e32 v40, v40, v77
	v_mad_u64_u32 v[9:10], null, s13, v11, v[5:6]
	v_mov_b32_e32 v3, v8
	v_add_f16_e64 v26, v26, v130
	v_mad_u64_u32 v[10:11], null, s12, v14, 0
	v_mov_b32_e32 v5, v7
	v_add_nc_u32_e32 v15, 0x320, v24
	s_delay_alu instid0(VALU_DEP_4)
	v_pack_b32_f16 v13, v26, v22
	v_add_f16_e32 v34, v34, v94
	v_add_f16_e32 v40, v40, v85
	v_mad_u64_u32 v[7:8], null, s13, v12, v[5:6]
	global_store_b32 v[0:1], v13, off
	v_lshlrev_b64 v[0:1], 2, v[2:3]
	v_dual_mov_b32 v2, v11 :: v_dual_mov_b32 v5, v9
	v_mad_u64_u32 v[8:9], null, s12, v15, 0
	v_add_f16_e32 v34, v34, v97
	s_delay_alu instid0(VALU_DEP_3) | instskip(NEXT) | instid1(VALU_DEP_4)
	v_mad_u64_u32 v[11:12], null, s13, v14, v[2:3]
	v_lshlrev_b64 v[3:4], 2, v[4:5]
	v_add_co_u32 v0, vcc_lo, v32, v0
	v_mov_b32_e32 v2, v9
	v_lshlrev_b64 v[5:6], 2, v[6:7]
	v_add_co_ci_u32_e32 v1, vcc_lo, v33, v1, vcc_lo
	v_lshlrev_b64 v[10:11], 2, v[10:11]
	s_delay_alu instid0(VALU_DEP_4) | instskip(SKIP_3) | instid1(VALU_DEP_4)
	v_mad_u64_u32 v[12:13], null, s13, v15, v[2:3]
	v_add_co_u32 v2, vcc_lo, v32, v3
	v_add_co_ci_u32_e32 v3, vcc_lo, v33, v4, vcc_lo
	v_add_co_u32 v4, vcc_lo, v32, v5
	v_mov_b32_e32 v9, v12
	v_add_f16_e32 v34, v34, v101
	v_add_co_ci_u32_e32 v5, vcc_lo, v33, v6, vcc_lo
	v_pack_b32_f16 v13, v40, v38
	s_delay_alu instid0(VALU_DEP_4)
	v_lshlrev_b64 v[6:7], 2, v[8:9]
	v_add_co_u32 v8, vcc_lo, v32, v10
	v_pack_b32_f16 v14, v34, v25
	v_add_co_ci_u32_e32 v9, vcc_lo, v33, v11, vcc_lo
	v_pack_b32_f16 v12, v55, v51
	v_add_co_u32 v6, vcc_lo, v32, v6
	v_pack_b32_f16 v10, v19, v18
	v_add_co_ci_u32_e32 v7, vcc_lo, v33, v7, vcc_lo
	v_pack_b32_f16 v11, v31, v23
	s_clause 0x4
	global_store_b32 v[0:1], v14, off
	global_store_b32 v[2:3], v13, off
	;; [unrolled: 1-line block ×5, first 2 shown]
.LBB0_17:
	s_nop 0
	s_sendmsg sendmsg(MSG_DEALLOC_VGPRS)
	s_endpgm
	.section	.rodata,"a",@progbits
	.p2align	6, 0x0
	.amdhsa_kernel fft_rtc_fwd_len850_factors_10_5_17_wgs_85_tpt_85_half_op_CI_CI_sbrr_dirReg
		.amdhsa_group_segment_fixed_size 0
		.amdhsa_private_segment_fixed_size 0
		.amdhsa_kernarg_size 104
		.amdhsa_user_sgpr_count 15
		.amdhsa_user_sgpr_dispatch_ptr 0
		.amdhsa_user_sgpr_queue_ptr 0
		.amdhsa_user_sgpr_kernarg_segment_ptr 1
		.amdhsa_user_sgpr_dispatch_id 0
		.amdhsa_user_sgpr_private_segment_size 0
		.amdhsa_wavefront_size32 1
		.amdhsa_uses_dynamic_stack 0
		.amdhsa_enable_private_segment 0
		.amdhsa_system_sgpr_workgroup_id_x 1
		.amdhsa_system_sgpr_workgroup_id_y 0
		.amdhsa_system_sgpr_workgroup_id_z 0
		.amdhsa_system_sgpr_workgroup_info 0
		.amdhsa_system_vgpr_workitem_id 0
		.amdhsa_next_free_vgpr 211
		.amdhsa_next_free_sgpr 31
		.amdhsa_reserve_vcc 1
		.amdhsa_float_round_mode_32 0
		.amdhsa_float_round_mode_16_64 0
		.amdhsa_float_denorm_mode_32 3
		.amdhsa_float_denorm_mode_16_64 3
		.amdhsa_dx10_clamp 1
		.amdhsa_ieee_mode 1
		.amdhsa_fp16_overflow 0
		.amdhsa_workgroup_processor_mode 1
		.amdhsa_memory_ordered 1
		.amdhsa_forward_progress 0
		.amdhsa_shared_vgpr_count 0
		.amdhsa_exception_fp_ieee_invalid_op 0
		.amdhsa_exception_fp_denorm_src 0
		.amdhsa_exception_fp_ieee_div_zero 0
		.amdhsa_exception_fp_ieee_overflow 0
		.amdhsa_exception_fp_ieee_underflow 0
		.amdhsa_exception_fp_ieee_inexact 0
		.amdhsa_exception_int_div_zero 0
	.end_amdhsa_kernel
	.text
.Lfunc_end0:
	.size	fft_rtc_fwd_len850_factors_10_5_17_wgs_85_tpt_85_half_op_CI_CI_sbrr_dirReg, .Lfunc_end0-fft_rtc_fwd_len850_factors_10_5_17_wgs_85_tpt_85_half_op_CI_CI_sbrr_dirReg
                                        ; -- End function
	.section	.AMDGPU.csdata,"",@progbits
; Kernel info:
; codeLenInByte = 12856
; NumSgprs: 33
; NumVgprs: 211
; ScratchSize: 0
; MemoryBound: 0
; FloatMode: 240
; IeeeMode: 1
; LDSByteSize: 0 bytes/workgroup (compile time only)
; SGPRBlocks: 4
; VGPRBlocks: 26
; NumSGPRsForWavesPerEU: 33
; NumVGPRsForWavesPerEU: 211
; Occupancy: 7
; WaveLimiterHint : 1
; COMPUTE_PGM_RSRC2:SCRATCH_EN: 0
; COMPUTE_PGM_RSRC2:USER_SGPR: 15
; COMPUTE_PGM_RSRC2:TRAP_HANDLER: 0
; COMPUTE_PGM_RSRC2:TGID_X_EN: 1
; COMPUTE_PGM_RSRC2:TGID_Y_EN: 0
; COMPUTE_PGM_RSRC2:TGID_Z_EN: 0
; COMPUTE_PGM_RSRC2:TIDIG_COMP_CNT: 0
	.text
	.p2alignl 7, 3214868480
	.fill 96, 4, 3214868480
	.type	__hip_cuid_4fb9e46200cdd6ff,@object ; @__hip_cuid_4fb9e46200cdd6ff
	.section	.bss,"aw",@nobits
	.globl	__hip_cuid_4fb9e46200cdd6ff
__hip_cuid_4fb9e46200cdd6ff:
	.byte	0                               ; 0x0
	.size	__hip_cuid_4fb9e46200cdd6ff, 1

	.ident	"AMD clang version 19.0.0git (https://github.com/RadeonOpenCompute/llvm-project roc-6.4.0 25133 c7fe45cf4b819c5991fe208aaa96edf142730f1d)"
	.section	".note.GNU-stack","",@progbits
	.addrsig
	.addrsig_sym __hip_cuid_4fb9e46200cdd6ff
	.amdgpu_metadata
---
amdhsa.kernels:
  - .args:
      - .actual_access:  read_only
        .address_space:  global
        .offset:         0
        .size:           8
        .value_kind:     global_buffer
      - .offset:         8
        .size:           8
        .value_kind:     by_value
      - .actual_access:  read_only
        .address_space:  global
        .offset:         16
        .size:           8
        .value_kind:     global_buffer
      - .actual_access:  read_only
        .address_space:  global
        .offset:         24
        .size:           8
        .value_kind:     global_buffer
      - .actual_access:  read_only
        .address_space:  global
        .offset:         32
        .size:           8
        .value_kind:     global_buffer
      - .offset:         40
        .size:           8
        .value_kind:     by_value
      - .actual_access:  read_only
        .address_space:  global
        .offset:         48
        .size:           8
        .value_kind:     global_buffer
      - .actual_access:  read_only
        .address_space:  global
        .offset:         56
        .size:           8
        .value_kind:     global_buffer
      - .offset:         64
        .size:           4
        .value_kind:     by_value
      - .actual_access:  read_only
        .address_space:  global
        .offset:         72
        .size:           8
        .value_kind:     global_buffer
      - .actual_access:  read_only
        .address_space:  global
        .offset:         80
        .size:           8
        .value_kind:     global_buffer
      - .actual_access:  read_only
        .address_space:  global
        .offset:         88
        .size:           8
        .value_kind:     global_buffer
      - .actual_access:  write_only
        .address_space:  global
        .offset:         96
        .size:           8
        .value_kind:     global_buffer
    .group_segment_fixed_size: 0
    .kernarg_segment_align: 8
    .kernarg_segment_size: 104
    .language:       OpenCL C
    .language_version:
      - 2
      - 0
    .max_flat_workgroup_size: 85
    .name:           fft_rtc_fwd_len850_factors_10_5_17_wgs_85_tpt_85_half_op_CI_CI_sbrr_dirReg
    .private_segment_fixed_size: 0
    .sgpr_count:     33
    .sgpr_spill_count: 0
    .symbol:         fft_rtc_fwd_len850_factors_10_5_17_wgs_85_tpt_85_half_op_CI_CI_sbrr_dirReg.kd
    .uniform_work_group_size: 1
    .uses_dynamic_stack: false
    .vgpr_count:     211
    .vgpr_spill_count: 0
    .wavefront_size: 32
    .workgroup_processor_mode: 1
amdhsa.target:   amdgcn-amd-amdhsa--gfx1100
amdhsa.version:
  - 1
  - 2
...

	.end_amdgpu_metadata
